;; amdgpu-corpus repo=ROCm/rocSPARSE kind=compiled arch=gfx1250 opt=O3
	.amdgcn_target "amdgcn-amd-amdhsa--gfx1250"
	.amdhsa_code_object_version 6
	.section	.text._ZN9rocsparseL39bsrgeam_wf_per_row_multipass_2_3_kernelILj256ELj2ELj32EfEEv20rocsparse_direction_iiiNS_24const_host_device_scalarIT2_EEPKiS6_PKS3_S4_S6_S6_S8_S6_PiPS3_21rocsparse_index_base_SB_SB_b,"axG",@progbits,_ZN9rocsparseL39bsrgeam_wf_per_row_multipass_2_3_kernelILj256ELj2ELj32EfEEv20rocsparse_direction_iiiNS_24const_host_device_scalarIT2_EEPKiS6_PKS3_S4_S6_S6_S8_S6_PiPS3_21rocsparse_index_base_SB_SB_b,comdat
	.globl	_ZN9rocsparseL39bsrgeam_wf_per_row_multipass_2_3_kernelILj256ELj2ELj32EfEEv20rocsparse_direction_iiiNS_24const_host_device_scalarIT2_EEPKiS6_PKS3_S4_S6_S6_S8_S6_PiPS3_21rocsparse_index_base_SB_SB_b ; -- Begin function _ZN9rocsparseL39bsrgeam_wf_per_row_multipass_2_3_kernelILj256ELj2ELj32EfEEv20rocsparse_direction_iiiNS_24const_host_device_scalarIT2_EEPKiS6_PKS3_S4_S6_S6_S8_S6_PiPS3_21rocsparse_index_base_SB_SB_b
	.p2align	8
	.type	_ZN9rocsparseL39bsrgeam_wf_per_row_multipass_2_3_kernelILj256ELj2ELj32EfEEv20rocsparse_direction_iiiNS_24const_host_device_scalarIT2_EEPKiS6_PKS3_S4_S6_S6_S8_S6_PiPS3_21rocsparse_index_base_SB_SB_b,@function
_ZN9rocsparseL39bsrgeam_wf_per_row_multipass_2_3_kernelILj256ELj2ELj32EfEEv20rocsparse_direction_iiiNS_24const_host_device_scalarIT2_EEPKiS6_PKS3_S4_S6_S6_S8_S6_PiPS3_21rocsparse_index_base_SB_SB_b: ; @_ZN9rocsparseL39bsrgeam_wf_per_row_multipass_2_3_kernelILj256ELj2ELj32EfEEv20rocsparse_direction_iiiNS_24const_host_device_scalarIT2_EEPKiS6_PKS3_S4_S6_S6_S8_S6_PiPS3_21rocsparse_index_base_SB_SB_b
; %bb.0:
	s_clause 0x2
	s_load_b128 s[4:7], s[0:1], 0x68
	s_load_b64 s[2:3], s[0:1], 0x10
	s_load_b64 s[24:25], s[0:1], 0x30
	s_wait_kmcnt 0x0
	s_bitcmp1_b32 s7, 0
	s_cselect_b32 s7, -1, 0
	s_delay_alu instid0(SALU_CYCLE_1)
	s_and_b32 vcc_lo, exec_lo, s7
	s_xor_b32 s7, s7, -1
	s_cbranch_vccnz .LBB0_2
; %bb.1:
	s_load_b32 s2, s[2:3], 0x0
.LBB0_2:
	s_and_not1_b32 vcc_lo, exec_lo, s7
	s_cbranch_vccnz .LBB0_4
; %bb.3:
	s_load_b32 s24, s[24:25], 0x0
.LBB0_4:
	s_nop 0
	s_load_b96 s[20:22], s[0:1], 0x0
	s_wait_xcnt 0x0
	s_bfe_u32 s3, ttmp6, 0x4000c
	s_and_b32 s7, ttmp6, 15
	s_add_co_i32 s3, s3, 1
	s_getreg_b32 s8, hwreg(HW_REG_IB_STS2, 6, 4)
	s_mul_i32 s3, ttmp9, s3
	v_lshrrev_b32_e32 v1, 5, v0
	s_add_co_i32 s7, s7, s3
	s_cmp_eq_u32 s8, 0
	s_cselect_b32 s3, ttmp9, s7
	s_delay_alu instid0(SALU_CYCLE_1) | instskip(NEXT) | instid1(SALU_CYCLE_1)
	s_lshl_b32 s3, s3, 3
	v_and_or_b32 v6, 0x7fffff8, s3, v1
	s_mov_b32 s3, exec_lo
	s_wait_kmcnt 0x0
	s_delay_alu instid0(VALU_DEP_1)
	v_cmpx_gt_i32_e64 s21, v6
	s_cbranch_execz .LBB0_39
; %bb.5:
	s_clause 0x2
	s_load_b128 s[8:11], s[0:1], 0x18
	s_load_b128 s[12:15], s[0:1], 0x38
	s_load_b64 s[16:17], s[0:1], 0x50
	v_lshlrev_b32_e32 v8, 2, v6
	s_wait_kmcnt 0x0
	s_clause 0x1
	global_load_b64 v[4:5], v8, s[8:9]
	global_load_b64 v[2:3], v8, s[12:13]
	global_load_b32 v7, v6, s[16:17] scale_offset
	s_wait_loadcnt 0x2
	s_wait_xcnt 0x0
	v_subrev_nc_u32_e32 v6, s4, v4
	v_cmp_lt_i32_e32 vcc_lo, v4, v5
	v_mov_b32_e32 v4, s22
	s_and_saveexec_b32 s3, vcc_lo
	s_cbranch_execz .LBB0_7
; %bb.6:
	global_load_b32 v4, v6, s[10:11] scale_offset
	s_wait_loadcnt 0x0
	v_subrev_nc_u32_e32 v4, s4, v4
.LBB0_7:
	s_or_b32 exec_lo, exec_lo, s3
	s_clause 0x2
	s_load_b128 s[16:19], s[0:1], 0x58
	s_load_b64 s[8:9], s[0:1], 0x28
	s_load_b64 s[12:13], s[0:1], 0x48
	s_wait_loadcnt 0x1
	v_subrev_nc_u32_e32 v8, s5, v2
	v_cmp_lt_i32_e32 vcc_lo, v2, v3
	v_mov_b32_e32 v2, s22
	s_wait_xcnt 0x0
	s_and_saveexec_b32 s0, vcc_lo
	s_cbranch_execz .LBB0_9
; %bb.8:
	global_load_b32 v2, v8, s[14:15] scale_offset
	s_wait_loadcnt 0x0
	v_subrev_nc_u32_e32 v2, s5, v2
.LBB0_9:
	s_or_b32 exec_lo, exec_lo, s0
	v_dual_lshlrev_b32 v10, 9, v1 :: v_dual_bitop2_b32 v1, 31, v0 bitop3:0x40
	v_subrev_nc_u32_e32 v13, s5, v3
	v_mbcnt_lo_u32_b32 v3, -1, 0
	v_min_i32_e32 v21, v2, v4
	s_movk_i32 s0, 0xe0
	v_add_nc_u32_e32 v15, v6, v1
	v_and_or_b32 v11, v0, s0, 0x1000
	v_xor_b32_e32 v2, 16, v3
	v_bitop3_b32 v0, v0, 31, v0 bitop3:0xc
	v_subrev_nc_u32_e32 v12, s4, v5
	s_cmp_lg_u32 s20, 0
	s_wait_loadcnt 0x0
	v_subrev_nc_u32_e32 v14, s6, v7
	v_cmp_gt_i32_e32 vcc_lo, 32, v2
	v_lshrrev_b32_e64 v18, v0, -1
	v_dual_add_nc_u32 v16, v8, v1 :: v_dual_bitop2_b32 v0, 8, v3 bitop3:0x14
	v_lshl_or_b32 v17, v1, 4, v10
	v_dual_cndmask_b32 v2, v3, v2 :: v_dual_add_nc_u32 v19, s6, v1
	s_delay_alu instid0(VALU_DEP_3) | instskip(SKIP_2) | instid1(VALU_DEP_2)
	v_cmp_gt_i32_e32 vcc_lo, 32, v0
	s_cselect_b32 s7, -1, 0
	s_cmp_eq_u32 s20, 0
	v_dual_lshlrev_b32 v20, 2, v2 :: v_dual_bitop2_b32 v2, 4, v3 bitop3:0x14
	v_cndmask_b32_e32 v0, v3, v0, vcc_lo
	s_mov_b32 s1, 0
	s_cselect_b32 s6, 4, 8
	s_cselect_b32 s20, 8, 4
	v_cmp_gt_i32_e32 vcc_lo, 32, v2
	v_xor_b32_e32 v4, 2, v3
	s_mov_b32 s3, s2
	s_mov_b32 s25, s24
	v_dual_lshlrev_b32 v22, 2, v0 :: v_dual_cndmask_b32 v2, v3, v2, vcc_lo
	s_delay_alu instid0(VALU_DEP_2) | instskip(SKIP_1) | instid1(VALU_DEP_3)
	v_cmp_gt_i32_e32 vcc_lo, 32, v4
	v_dual_mov_b32 v27, 1 :: v_dual_bitop2_b32 v5, 1, v3 bitop3:0x14
	v_dual_cndmask_b32 v4, v3, v4 :: v_dual_lshlrev_b32 v23, 2, v2
	s_delay_alu instid0(VALU_DEP_2) | instskip(SKIP_1) | instid1(VALU_DEP_3)
	v_cmp_gt_i32_e32 vcc_lo, 32, v5
	v_dual_cndmask_b32 v3, v3, v5, vcc_lo :: v_dual_mov_b32 v5, 0
	v_dual_lshlrev_b32 v24, 2, v4 :: v_dual_add_nc_u32 v26, v11, v1
	s_delay_alu instid0(VALU_DEP_2)
	v_dual_mov_b32 v0, v5 :: v_dual_lshlrev_b32 v25, 2, v3
	v_dual_mov_b32 v1, v5 :: v_dual_mov_b32 v2, v5
	v_mov_b32_e32 v3, v5
	s_branch .LBB0_11
.LBB0_10:                               ;   in Loop: Header=BB0_11 Depth=1
	s_wait_xcnt 0x0
	s_or_b32 exec_lo, exec_lo, s21
	ds_bpermute_b32 v4, v20, v28
	s_bcnt1_i32_b32 s21, vcc_lo
	s_wait_dscnt 0x0
	v_dual_add_nc_u32 v14, s21, v14 :: v_dual_min_i32 v4, v4, v28
	ds_bpermute_b32 v6, v22, v4
	s_wait_dscnt 0x0
	v_min_i32_e32 v4, v6, v4
	ds_bpermute_b32 v6, v23, v4
	s_wait_dscnt 0x0
	v_min_i32_e32 v4, v6, v4
	;; [unrolled: 3-line block ×4, first 2 shown]
	s_delay_alu instid0(VALU_DEP_1) | instskip(SKIP_1) | instid1(SALU_CYCLE_1)
	v_cmp_le_i32_e64 s0, s22, v21
	s_or_b32 s1, s0, s1
	s_and_not1_b32 exec_lo, exec_lo, s1
	s_cbranch_execz .LBB0_39
.LBB0_11:                               ; =>This Loop Header: Depth=1
                                        ;     Child Loop BB0_14 Depth 2
                                        ;     Child Loop BB0_27 Depth 2
	v_mov_b32_e32 v28, s22
	s_mov_b32 s21, exec_lo
	ds_store_b8 v26, v5
	ds_store_b128 v17, v[0:3]
	s_wait_dscnt 0x0
	v_cmpx_lt_i32_e64 v15, v12
	s_cbranch_execz .LBB0_24
; %bb.12:                               ;   in Loop: Header=BB0_11 Depth=1
	v_dual_lshlrev_b32 v4, 2, v15 :: v_dual_mov_b32 v28, s22
	s_mov_b32 s23, 0
	s_branch .LBB0_14
.LBB0_13:                               ;   in Loop: Header=BB0_14 Depth=2
	s_or_b32 exec_lo, exec_lo, s27
	s_delay_alu instid0(SALU_CYCLE_1) | instskip(NEXT) | instid1(SALU_CYCLE_1)
	s_and_b32 s0, exec_lo, s26
	s_or_b32 s23, s0, s23
	s_delay_alu instid0(SALU_CYCLE_1)
	s_and_not1_b32 exec_lo, exec_lo, s23
	s_cbranch_execz .LBB0_23
.LBB0_14:                               ;   Parent Loop BB0_11 Depth=1
                                        ; =>  This Inner Loop Header: Depth=2
	global_load_b32 v6, v15, s[10:11] scale_offset
	s_mov_b32 s26, exec_lo
	s_wait_loadcnt 0x0
	v_subrev_nc_u32_e32 v7, s4, v6
	s_delay_alu instid0(VALU_DEP_1) | instskip(NEXT) | instid1(VALU_DEP_1)
	v_sub_nc_u32_e32 v6, v7, v21
	v_cmp_gt_u32_e64 s0, 32, v6
	s_wait_xcnt 0x0
	v_cmpx_lt_u32_e32 31, v6
	s_xor_b32 s26, exec_lo, s26
; %bb.15:                               ;   in Loop: Header=BB0_14 Depth=2
	v_min_i32_e32 v28, v7, v28
                                        ; implicit-def: $vgpr6
; %bb.16:                               ;   in Loop: Header=BB0_14 Depth=2
	s_and_not1_saveexec_b32 s26, s26
	s_cbranch_execz .LBB0_21
; %bb.17:                               ;   in Loop: Header=BB0_14 Depth=2
	s_wait_kmcnt 0x0
	global_load_b32 v7, v4, s[8:9] scale_offset
	v_dual_lshlrev_b32 v8, 4, v6 :: v_dual_add_nc_u32 v9, v11, v6
	s_mov_b32 s27, -1
	s_and_not1_b32 vcc_lo, exec_lo, s7
	s_wait_loadcnt 0x0
	s_delay_alu instid0(VALU_DEP_1)
	v_dual_mul_f32 v29, s2, v7 :: v_dual_add_nc_u32 v8, v10, v8
	v_lshl_add_u64 v[6:7], v[4:5], 2, s[8:9]
	ds_store_b8 v9, v27
	ds_store_b32 v8, v29
	s_cbranch_vccnz .LBB0_19
; %bb.18:                               ;   in Loop: Header=BB0_14 Depth=2
	global_load_b96 v[30:32], v[6:7], off offset:4
	v_mov_b64_e32 v[34:35], s[2:3]
	s_mov_b32 s27, 0
	s_wait_loadcnt 0x0
	s_delay_alu instid0(VALU_DEP_1)
	v_pk_mul_f32 v[30:31], v[34:35], v[30:31] op_sel:[0,1] op_sel_hi:[1,0]
	v_mul_f32_e32 v9, s2, v32
	ds_store_2addr_b32 v8, v30, v31 offset0:1 offset1:2
	ds_store_b32 v8, v9 offset:12
.LBB0_19:                               ;   in Loop: Header=BB0_14 Depth=2
	s_and_not1_b32 vcc_lo, exec_lo, s27
	s_cbranch_vccnz .LBB0_21
; %bb.20:                               ;   in Loop: Header=BB0_14 Depth=2
	global_load_b96 v[30:32], v[6:7], off offset:4
	s_wait_xcnt 0x0
	v_mov_b64_e32 v[6:7], s[2:3]
	s_wait_loadcnt 0x0
	s_delay_alu instid0(VALU_DEP_1)
	v_pk_mul_f32 v[6:7], v[6:7], v[30:31]
	v_mul_f32_e32 v9, s2, v32
	ds_store_2addr_b32 v8, v6, v7 offset0:1 offset1:2
	ds_store_b32 v8, v9 offset:12
.LBB0_21:                               ;   in Loop: Header=BB0_14 Depth=2
	s_wait_xcnt 0x0
	s_or_b32 exec_lo, exec_lo, s26
	s_mov_b32 s26, -1
	s_and_saveexec_b32 s27, s0
	s_cbranch_execz .LBB0_13
; %bb.22:                               ;   in Loop: Header=BB0_14 Depth=2
	v_add_nc_u32_e32 v15, 32, v15
	v_add_nc_u32_e32 v4, 0x80, v4
	s_delay_alu instid0(VALU_DEP_2)
	v_cmp_ge_i32_e32 vcc_lo, v15, v12
	s_or_not1_b32 s26, vcc_lo, exec_lo
	s_branch .LBB0_13
.LBB0_23:                               ;   in Loop: Header=BB0_11 Depth=1
	s_or_b32 exec_lo, exec_lo, s23
.LBB0_24:                               ;   in Loop: Header=BB0_11 Depth=1
	s_delay_alu instid0(SALU_CYCLE_1) | instskip(NEXT) | instid1(SALU_CYCLE_1)
	s_or_b32 exec_lo, exec_lo, s21
	s_mov_b32 s21, exec_lo
	s_wait_dscnt 0x0
	v_cmpx_lt_i32_e64 v16, v13
	s_cbranch_execz .LBB0_37
; %bb.25:                               ;   in Loop: Header=BB0_11 Depth=1
	v_lshlrev_b32_e32 v4, 2, v16
	s_mov_b32 s23, 0
	s_branch .LBB0_27
.LBB0_26:                               ;   in Loop: Header=BB0_27 Depth=2
	s_or_b32 exec_lo, exec_lo, s27
	s_delay_alu instid0(SALU_CYCLE_1) | instskip(NEXT) | instid1(SALU_CYCLE_1)
	s_and_b32 s0, exec_lo, s26
	s_or_b32 s23, s0, s23
	s_delay_alu instid0(SALU_CYCLE_1)
	s_and_not1_b32 exec_lo, exec_lo, s23
	s_cbranch_execz .LBB0_36
.LBB0_27:                               ;   Parent Loop BB0_11 Depth=1
                                        ; =>  This Inner Loop Header: Depth=2
	global_load_b32 v6, v16, s[14:15] scale_offset
	s_mov_b32 s26, exec_lo
	s_wait_loadcnt 0x0
	v_subrev_nc_u32_e32 v6, s5, v6
	s_delay_alu instid0(VALU_DEP_1) | instskip(NEXT) | instid1(VALU_DEP_1)
	v_sub_nc_u32_e32 v8, v6, v21
	v_cmp_gt_u32_e64 s0, 32, v8
	s_wait_xcnt 0x0
	v_cmpx_lt_u32_e32 31, v8
	s_xor_b32 s26, exec_lo, s26
; %bb.28:                               ;   in Loop: Header=BB0_27 Depth=2
	v_min_i32_e32 v28, v6, v28
                                        ; implicit-def: $vgpr8
; %bb.29:                               ;   in Loop: Header=BB0_27 Depth=2
	s_and_not1_saveexec_b32 s26, s26
	s_cbranch_execz .LBB0_34
; %bb.30:                               ;   in Loop: Header=BB0_27 Depth=2
	s_wait_kmcnt 0x0
	global_load_b32 v9, v4, s[12:13] scale_offset
	v_dual_lshlrev_b32 v6, 4, v8 :: v_dual_add_nc_u32 v30, v11, v8
	s_mov_b32 s27, -1
	s_and_not1_b32 vcc_lo, exec_lo, s7
	s_delay_alu instid0(VALU_DEP_1)
	v_add_nc_u32_e32 v29, v10, v6
	ds_load_b64 v[6:7], v29
	s_wait_loadcnt_dscnt 0x0
	v_fmac_f32_e32 v6, s24, v9
	v_lshl_add_u64 v[8:9], v[4:5], 2, s[12:13]
	ds_store_b8 v30, v27
	ds_store_b32 v29, v6
	s_cbranch_vccnz .LBB0_32
; %bb.31:                               ;   in Loop: Header=BB0_27 Depth=2
	global_load_b96 v[30:32], v[8:9], off offset:4
	ds_load_b64 v[34:35], v29 offset:8
	v_mov_b64_e32 v[38:39], s[24:25]
	v_mov_b32_e32 v36, v7
	s_mov_b32 s27, 0
	s_wait_dscnt 0x0
	v_mov_b32_e32 v37, v34
	s_wait_loadcnt 0x0
	s_delay_alu instid0(VALU_DEP_1)
	v_pk_fma_f32 v[30:31], v[38:39], v[30:31], v[36:37] op_sel:[0,1,0] op_sel_hi:[1,0,1]
	v_fmac_f32_e32 v35, s24, v32
	ds_store_2addr_b32 v29, v30, v31 offset0:1 offset1:2
	ds_store_b32 v29, v35 offset:12
.LBB0_32:                               ;   in Loop: Header=BB0_27 Depth=2
	s_and_not1_b32 vcc_lo, exec_lo, s27
	s_cbranch_vccnz .LBB0_34
; %bb.33:                               ;   in Loop: Header=BB0_27 Depth=2
	global_load_b96 v[30:32], v[8:9], off offset:4
	s_wait_xcnt 0x0
	ds_load_b64 v[8:9], v29 offset:8
	v_mov_b64_e32 v[34:35], s[24:25]
	s_wait_dscnt 0x0
	v_dual_mov_b32 v6, v7 :: v_dual_mov_b32 v7, v8
	s_wait_loadcnt 0x0
	s_delay_alu instid0(VALU_DEP_1)
	v_pk_fma_f32 v[6:7], v[34:35], v[30:31], v[6:7]
	v_fmac_f32_e32 v9, s24, v32
	ds_store_2addr_b32 v29, v6, v7 offset0:1 offset1:2
	ds_store_b32 v29, v9 offset:12
.LBB0_34:                               ;   in Loop: Header=BB0_27 Depth=2
	s_wait_xcnt 0x0
	s_or_b32 exec_lo, exec_lo, s26
	s_mov_b32 s26, -1
	s_and_saveexec_b32 s27, s0
	s_cbranch_execz .LBB0_26
; %bb.35:                               ;   in Loop: Header=BB0_27 Depth=2
	v_add_nc_u32_e32 v16, 32, v16
	v_add_nc_u32_e32 v4, 0x80, v4
	s_delay_alu instid0(VALU_DEP_2)
	v_cmp_ge_i32_e32 vcc_lo, v16, v13
	s_or_not1_b32 s26, vcc_lo, exec_lo
	s_branch .LBB0_26
.LBB0_36:                               ;   in Loop: Header=BB0_11 Depth=1
	s_or_b32 exec_lo, exec_lo, s23
.LBB0_37:                               ;   in Loop: Header=BB0_11 Depth=1
	s_delay_alu instid0(SALU_CYCLE_1)
	s_or_b32 exec_lo, exec_lo, s21
	s_wait_dscnt 0x0
	ds_load_u8 v4, v26
	s_mov_b32 s21, exec_lo
	s_wait_dscnt 0x0
	v_and_b32_e32 v6, 1, v4
	v_cmp_ne_u16_e32 vcc_lo, 0, v4
	s_delay_alu instid0(VALU_DEP_2)
	v_cmpx_eq_u32_e32 1, v6
	s_cbranch_execz .LBB0_10
; %bb.38:                               ;   in Loop: Header=BB0_11 Depth=1
	v_dual_add_nc_u32 v6, s6, v17 :: v_dual_bitop2_b32 v4, vcc_lo, v18 bitop3:0x40
	ds_load_2addr_b32 v[30:31], v17 offset1:3
	v_add_nc_u32_e32 v8, s20, v17
	v_add_nc_u32_e32 v21, v19, v21
	ds_load_b32 v7, v6
	ds_load_b32 v8, v8
	v_bcnt_u32_b32 v4, v4, 0
	s_delay_alu instid0(VALU_DEP_1) | instskip(SKIP_1) | instid1(VALU_DEP_1)
	v_add3_u32 v29, v14, v4, -1
	s_wait_dscnt 0x2
	v_dual_mov_b32 v9, v31 :: v_dual_lshlrev_b32 v4, 2, v29
	s_wait_kmcnt 0x0
	s_delay_alu instid0(VALU_DEP_1)
	v_lshl_add_u64 v[32:33], v[4:5], 2, s[18:19]
	v_mov_b32_e32 v6, v30
	global_store_b32 v29, v21, s[16:17] scale_offset
	s_wait_dscnt 0x0
	global_store_b128 v[32:33], v[6:9], off
	s_branch .LBB0_10
.LBB0_39:
	s_endpgm
	.section	.rodata,"a",@progbits
	.p2align	6, 0x0
	.amdhsa_kernel _ZN9rocsparseL39bsrgeam_wf_per_row_multipass_2_3_kernelILj256ELj2ELj32EfEEv20rocsparse_direction_iiiNS_24const_host_device_scalarIT2_EEPKiS6_PKS3_S4_S6_S6_S8_S6_PiPS3_21rocsparse_index_base_SB_SB_b
		.amdhsa_group_segment_fixed_size 4352
		.amdhsa_private_segment_fixed_size 0
		.amdhsa_kernarg_size 120
		.amdhsa_user_sgpr_count 2
		.amdhsa_user_sgpr_dispatch_ptr 0
		.amdhsa_user_sgpr_queue_ptr 0
		.amdhsa_user_sgpr_kernarg_segment_ptr 1
		.amdhsa_user_sgpr_dispatch_id 0
		.amdhsa_user_sgpr_kernarg_preload_length 0
		.amdhsa_user_sgpr_kernarg_preload_offset 0
		.amdhsa_user_sgpr_private_segment_size 0
		.amdhsa_wavefront_size32 1
		.amdhsa_uses_dynamic_stack 0
		.amdhsa_enable_private_segment 0
		.amdhsa_system_sgpr_workgroup_id_x 1
		.amdhsa_system_sgpr_workgroup_id_y 0
		.amdhsa_system_sgpr_workgroup_id_z 0
		.amdhsa_system_sgpr_workgroup_info 0
		.amdhsa_system_vgpr_workitem_id 0
		.amdhsa_next_free_vgpr 40
		.amdhsa_next_free_sgpr 28
		.amdhsa_named_barrier_count 0
		.amdhsa_reserve_vcc 1
		.amdhsa_float_round_mode_32 0
		.amdhsa_float_round_mode_16_64 0
		.amdhsa_float_denorm_mode_32 3
		.amdhsa_float_denorm_mode_16_64 3
		.amdhsa_fp16_overflow 0
		.amdhsa_memory_ordered 1
		.amdhsa_forward_progress 1
		.amdhsa_inst_pref_size 15
		.amdhsa_round_robin_scheduling 0
		.amdhsa_exception_fp_ieee_invalid_op 0
		.amdhsa_exception_fp_denorm_src 0
		.amdhsa_exception_fp_ieee_div_zero 0
		.amdhsa_exception_fp_ieee_overflow 0
		.amdhsa_exception_fp_ieee_underflow 0
		.amdhsa_exception_fp_ieee_inexact 0
		.amdhsa_exception_int_div_zero 0
	.end_amdhsa_kernel
	.section	.text._ZN9rocsparseL39bsrgeam_wf_per_row_multipass_2_3_kernelILj256ELj2ELj32EfEEv20rocsparse_direction_iiiNS_24const_host_device_scalarIT2_EEPKiS6_PKS3_S4_S6_S6_S8_S6_PiPS3_21rocsparse_index_base_SB_SB_b,"axG",@progbits,_ZN9rocsparseL39bsrgeam_wf_per_row_multipass_2_3_kernelILj256ELj2ELj32EfEEv20rocsparse_direction_iiiNS_24const_host_device_scalarIT2_EEPKiS6_PKS3_S4_S6_S6_S8_S6_PiPS3_21rocsparse_index_base_SB_SB_b,comdat
.Lfunc_end0:
	.size	_ZN9rocsparseL39bsrgeam_wf_per_row_multipass_2_3_kernelILj256ELj2ELj32EfEEv20rocsparse_direction_iiiNS_24const_host_device_scalarIT2_EEPKiS6_PKS3_S4_S6_S6_S8_S6_PiPS3_21rocsparse_index_base_SB_SB_b, .Lfunc_end0-_ZN9rocsparseL39bsrgeam_wf_per_row_multipass_2_3_kernelILj256ELj2ELj32EfEEv20rocsparse_direction_iiiNS_24const_host_device_scalarIT2_EEPKiS6_PKS3_S4_S6_S6_S8_S6_PiPS3_21rocsparse_index_base_SB_SB_b
                                        ; -- End function
	.set _ZN9rocsparseL39bsrgeam_wf_per_row_multipass_2_3_kernelILj256ELj2ELj32EfEEv20rocsparse_direction_iiiNS_24const_host_device_scalarIT2_EEPKiS6_PKS3_S4_S6_S6_S8_S6_PiPS3_21rocsparse_index_base_SB_SB_b.num_vgpr, 40
	.set _ZN9rocsparseL39bsrgeam_wf_per_row_multipass_2_3_kernelILj256ELj2ELj32EfEEv20rocsparse_direction_iiiNS_24const_host_device_scalarIT2_EEPKiS6_PKS3_S4_S6_S6_S8_S6_PiPS3_21rocsparse_index_base_SB_SB_b.num_agpr, 0
	.set _ZN9rocsparseL39bsrgeam_wf_per_row_multipass_2_3_kernelILj256ELj2ELj32EfEEv20rocsparse_direction_iiiNS_24const_host_device_scalarIT2_EEPKiS6_PKS3_S4_S6_S6_S8_S6_PiPS3_21rocsparse_index_base_SB_SB_b.numbered_sgpr, 28
	.set _ZN9rocsparseL39bsrgeam_wf_per_row_multipass_2_3_kernelILj256ELj2ELj32EfEEv20rocsparse_direction_iiiNS_24const_host_device_scalarIT2_EEPKiS6_PKS3_S4_S6_S6_S8_S6_PiPS3_21rocsparse_index_base_SB_SB_b.num_named_barrier, 0
	.set _ZN9rocsparseL39bsrgeam_wf_per_row_multipass_2_3_kernelILj256ELj2ELj32EfEEv20rocsparse_direction_iiiNS_24const_host_device_scalarIT2_EEPKiS6_PKS3_S4_S6_S6_S8_S6_PiPS3_21rocsparse_index_base_SB_SB_b.private_seg_size, 0
	.set _ZN9rocsparseL39bsrgeam_wf_per_row_multipass_2_3_kernelILj256ELj2ELj32EfEEv20rocsparse_direction_iiiNS_24const_host_device_scalarIT2_EEPKiS6_PKS3_S4_S6_S6_S8_S6_PiPS3_21rocsparse_index_base_SB_SB_b.uses_vcc, 1
	.set _ZN9rocsparseL39bsrgeam_wf_per_row_multipass_2_3_kernelILj256ELj2ELj32EfEEv20rocsparse_direction_iiiNS_24const_host_device_scalarIT2_EEPKiS6_PKS3_S4_S6_S6_S8_S6_PiPS3_21rocsparse_index_base_SB_SB_b.uses_flat_scratch, 0
	.set _ZN9rocsparseL39bsrgeam_wf_per_row_multipass_2_3_kernelILj256ELj2ELj32EfEEv20rocsparse_direction_iiiNS_24const_host_device_scalarIT2_EEPKiS6_PKS3_S4_S6_S6_S8_S6_PiPS3_21rocsparse_index_base_SB_SB_b.has_dyn_sized_stack, 0
	.set _ZN9rocsparseL39bsrgeam_wf_per_row_multipass_2_3_kernelILj256ELj2ELj32EfEEv20rocsparse_direction_iiiNS_24const_host_device_scalarIT2_EEPKiS6_PKS3_S4_S6_S6_S8_S6_PiPS3_21rocsparse_index_base_SB_SB_b.has_recursion, 0
	.set _ZN9rocsparseL39bsrgeam_wf_per_row_multipass_2_3_kernelILj256ELj2ELj32EfEEv20rocsparse_direction_iiiNS_24const_host_device_scalarIT2_EEPKiS6_PKS3_S4_S6_S6_S8_S6_PiPS3_21rocsparse_index_base_SB_SB_b.has_indirect_call, 0
	.section	.AMDGPU.csdata,"",@progbits
; Kernel info:
; codeLenInByte = 1804
; TotalNumSgprs: 30
; NumVgprs: 40
; ScratchSize: 0
; MemoryBound: 0
; FloatMode: 240
; IeeeMode: 1
; LDSByteSize: 4352 bytes/workgroup (compile time only)
; SGPRBlocks: 0
; VGPRBlocks: 2
; NumSGPRsForWavesPerEU: 30
; NumVGPRsForWavesPerEU: 40
; NamedBarCnt: 0
; Occupancy: 16
; WaveLimiterHint : 1
; COMPUTE_PGM_RSRC2:SCRATCH_EN: 0
; COMPUTE_PGM_RSRC2:USER_SGPR: 2
; COMPUTE_PGM_RSRC2:TRAP_HANDLER: 0
; COMPUTE_PGM_RSRC2:TGID_X_EN: 1
; COMPUTE_PGM_RSRC2:TGID_Y_EN: 0
; COMPUTE_PGM_RSRC2:TGID_Z_EN: 0
; COMPUTE_PGM_RSRC2:TIDIG_COMP_CNT: 0
	.section	.text._ZN9rocsparseL39bsrgeam_wf_per_row_multipass_2_3_kernelILj256ELj2ELj64EfEEv20rocsparse_direction_iiiNS_24const_host_device_scalarIT2_EEPKiS6_PKS3_S4_S6_S6_S8_S6_PiPS3_21rocsparse_index_base_SB_SB_b,"axG",@progbits,_ZN9rocsparseL39bsrgeam_wf_per_row_multipass_2_3_kernelILj256ELj2ELj64EfEEv20rocsparse_direction_iiiNS_24const_host_device_scalarIT2_EEPKiS6_PKS3_S4_S6_S6_S8_S6_PiPS3_21rocsparse_index_base_SB_SB_b,comdat
	.globl	_ZN9rocsparseL39bsrgeam_wf_per_row_multipass_2_3_kernelILj256ELj2ELj64EfEEv20rocsparse_direction_iiiNS_24const_host_device_scalarIT2_EEPKiS6_PKS3_S4_S6_S6_S8_S6_PiPS3_21rocsparse_index_base_SB_SB_b ; -- Begin function _ZN9rocsparseL39bsrgeam_wf_per_row_multipass_2_3_kernelILj256ELj2ELj64EfEEv20rocsparse_direction_iiiNS_24const_host_device_scalarIT2_EEPKiS6_PKS3_S4_S6_S6_S8_S6_PiPS3_21rocsparse_index_base_SB_SB_b
	.p2align	8
	.type	_ZN9rocsparseL39bsrgeam_wf_per_row_multipass_2_3_kernelILj256ELj2ELj64EfEEv20rocsparse_direction_iiiNS_24const_host_device_scalarIT2_EEPKiS6_PKS3_S4_S6_S6_S8_S6_PiPS3_21rocsparse_index_base_SB_SB_b,@function
_ZN9rocsparseL39bsrgeam_wf_per_row_multipass_2_3_kernelILj256ELj2ELj64EfEEv20rocsparse_direction_iiiNS_24const_host_device_scalarIT2_EEPKiS6_PKS3_S4_S6_S6_S8_S6_PiPS3_21rocsparse_index_base_SB_SB_b: ; @_ZN9rocsparseL39bsrgeam_wf_per_row_multipass_2_3_kernelILj256ELj2ELj64EfEEv20rocsparse_direction_iiiNS_24const_host_device_scalarIT2_EEPKiS6_PKS3_S4_S6_S6_S8_S6_PiPS3_21rocsparse_index_base_SB_SB_b
; %bb.0:
	s_clause 0x2
	s_load_b128 s[4:7], s[0:1], 0x68
	s_load_b64 s[2:3], s[0:1], 0x10
	s_load_b64 s[24:25], s[0:1], 0x30
	s_wait_kmcnt 0x0
	s_bitcmp1_b32 s7, 0
	s_cselect_b32 s7, -1, 0
	s_delay_alu instid0(SALU_CYCLE_1)
	s_and_b32 vcc_lo, exec_lo, s7
	s_xor_b32 s7, s7, -1
	s_cbranch_vccnz .LBB1_2
; %bb.1:
	s_load_b32 s2, s[2:3], 0x0
.LBB1_2:
	s_and_not1_b32 vcc_lo, exec_lo, s7
	s_cbranch_vccnz .LBB1_4
; %bb.3:
	s_load_b32 s24, s[24:25], 0x0
.LBB1_4:
	s_nop 0
	s_load_b96 s[20:22], s[0:1], 0x0
	s_wait_xcnt 0x0
	s_bfe_u32 s3, ttmp6, 0x4000c
	s_and_b32 s7, ttmp6, 15
	s_add_co_i32 s3, s3, 1
	s_getreg_b32 s8, hwreg(HW_REG_IB_STS2, 6, 4)
	s_mul_i32 s3, ttmp9, s3
	v_lshrrev_b32_e32 v1, 6, v0
	s_add_co_i32 s7, s7, s3
	s_cmp_eq_u32 s8, 0
	s_cselect_b32 s3, ttmp9, s7
	s_delay_alu instid0(SALU_CYCLE_1) | instskip(NEXT) | instid1(SALU_CYCLE_1)
	s_lshl_b32 s3, s3, 2
	v_and_or_b32 v7, 0x3fffffc, s3, v1
	s_mov_b32 s3, exec_lo
	s_wait_kmcnt 0x0
	s_delay_alu instid0(VALU_DEP_1)
	v_cmpx_gt_i32_e64 s21, v7
	s_cbranch_execz .LBB1_39
; %bb.5:
	s_clause 0x2
	s_load_b128 s[8:11], s[0:1], 0x18
	s_load_b128 s[12:15], s[0:1], 0x38
	s_load_b64 s[16:17], s[0:1], 0x50
	v_lshlrev_b32_e32 v8, 2, v7
	s_wait_kmcnt 0x0
	s_clause 0x1
	global_load_b64 v[2:3], v8, s[8:9]
	global_load_b64 v[4:5], v8, s[12:13]
	global_load_b32 v6, v7, s[16:17] scale_offset
	s_wait_loadcnt 0x2
	s_wait_xcnt 0x0
	v_subrev_nc_u32_e32 v7, s4, v2
	v_cmp_lt_i32_e32 vcc_lo, v2, v3
	v_mov_b32_e32 v2, s22
	s_and_saveexec_b32 s3, vcc_lo
	s_cbranch_execz .LBB1_7
; %bb.6:
	global_load_b32 v2, v7, s[10:11] scale_offset
	s_wait_loadcnt 0x0
	v_subrev_nc_u32_e32 v2, s4, v2
.LBB1_7:
	s_or_b32 exec_lo, exec_lo, s3
	s_clause 0x2
	s_load_b128 s[16:19], s[0:1], 0x58
	s_load_b64 s[8:9], s[0:1], 0x28
	s_load_b64 s[12:13], s[0:1], 0x48
	s_wait_loadcnt 0x1
	v_subrev_nc_u32_e32 v8, s5, v4
	v_cmp_lt_i32_e32 vcc_lo, v4, v5
	v_mov_b32_e32 v4, s22
	s_wait_xcnt 0x0
	s_and_saveexec_b32 s0, vcc_lo
	s_cbranch_execz .LBB1_9
; %bb.8:
	global_load_b32 v4, v8, s[14:15] scale_offset
	s_wait_loadcnt 0x0
	v_subrev_nc_u32_e32 v4, s5, v4
.LBB1_9:
	s_or_b32 exec_lo, exec_lo, s0
	v_dual_lshlrev_b32 v12, 10, v1 :: v_dual_bitop2_b32 v1, 63, v0 bitop3:0x40
	s_delay_alu instid0(VALU_DEP_2)
	v_min_i32_e32 v20, v4, v2
	v_mbcnt_lo_u32_b32 v2, -1, 0
	v_subrev_nc_u32_e32 v14, s4, v3
	s_movk_i32 s0, 0xc0
	v_add_nc_u32_e32 v18, v8, v1
	v_and_or_b32 v13, v0, s0, 0x1000
	v_or_b32_e32 v3, 32, v2
	v_bitop3_b32 v0, v0, 63, v0 bitop3:0xc
	v_subrev_nc_u32_e32 v15, s5, v5
	s_wait_loadcnt 0x0
	v_subrev_nc_u32_e32 v16, s6, v6
	v_add_nc_u32_e32 v17, v7, v1
	v_cmp_gt_i32_e32 vcc_lo, 32, v3
	v_xor_b32_e32 v4, 16, v2
	s_cmp_lg_u32 s20, 0
	v_lshl_or_b32 v19, v1, 4, v12
	v_dual_mov_b32 v28, 1 :: v_dual_cndmask_b32 v3, v2, v3
	s_delay_alu instid0(VALU_DEP_3)
	v_cmp_gt_i32_e32 vcc_lo, 32, v4
	s_cselect_b32 s7, -1, 0
	s_cmp_eq_u32 s20, 0
	s_mov_b32 s1, 0
	v_dual_cndmask_b32 v6, v2, v4 :: v_dual_lshlrev_b32 v21, 2, v3
	v_lshrrev_b64 v[4:5], v0, -1
	v_dual_add_nc_u32 v5, s6, v1 :: v_dual_bitop2_b32 v0, 8, v2 bitop3:0x14
	s_cselect_b32 s6, 4, 8
	s_cselect_b32 s20, 8, 4
	s_mov_b32 s3, s2
	s_delay_alu instid0(VALU_DEP_1) | instskip(SKIP_3) | instid1(VALU_DEP_1)
	v_cmp_gt_i32_e32 vcc_lo, 32, v0
	v_lshlrev_b32_e32 v22, 2, v6
	s_mov_b32 s25, s24
	v_dual_cndmask_b32 v0, v2, v0 :: v_dual_add_nc_u32 v27, v13, v1
	v_dual_lshlrev_b32 v23, 2, v0 :: v_dual_bitop2_b32 v7, 1, v2 bitop3:0x14
	v_xor_b32_e32 v3, 4, v2
	s_delay_alu instid0(VALU_DEP_1) | instskip(SKIP_1) | instid1(VALU_DEP_1)
	v_cmp_gt_i32_e32 vcc_lo, 32, v3
	v_dual_cndmask_b32 v3, v2, v3, vcc_lo :: v_dual_bitop2_b32 v6, 2, v2 bitop3:0x14
	v_cmp_gt_i32_e32 vcc_lo, 32, v6
	s_delay_alu instid0(VALU_DEP_2) | instskip(SKIP_1) | instid1(VALU_DEP_2)
	v_dual_lshlrev_b32 v24, 2, v3 :: v_dual_cndmask_b32 v6, v2, v6, vcc_lo
	v_cmp_gt_i32_e32 vcc_lo, 32, v7
	v_dual_cndmask_b32 v2, v2, v7 :: v_dual_lshlrev_b32 v25, 2, v6
	s_delay_alu instid0(VALU_DEP_1) | instskip(NEXT) | instid1(VALU_DEP_1)
	v_dual_mov_b32 v7, 0 :: v_dual_lshlrev_b32 v26, 2, v2
	v_dual_mov_b32 v0, v7 :: v_dual_mov_b32 v1, v7
	v_dual_mov_b32 v2, v7 :: v_dual_mov_b32 v3, v7
	s_branch .LBB1_11
.LBB1_10:                               ;   in Loop: Header=BB1_11 Depth=1
	s_wait_xcnt 0x0
	s_or_b32 exec_lo, exec_lo, s21
	ds_bpermute_b32 v6, v21, v29
	s_bcnt1_i32_b32 s21, vcc_lo
	s_wait_dscnt 0x0
	v_dual_add_nc_u32 v16, s21, v16 :: v_dual_min_i32 v6, v6, v29
	ds_bpermute_b32 v8, v22, v6
	s_wait_dscnt 0x0
	v_min_i32_e32 v6, v8, v6
	ds_bpermute_b32 v8, v23, v6
	s_wait_dscnt 0x0
	v_min_i32_e32 v6, v8, v6
	ds_bpermute_b32 v8, v24, v6
	s_wait_dscnt 0x0
	v_min_i32_e32 v6, v8, v6
	ds_bpermute_b32 v8, v25, v6
	s_wait_dscnt 0x0
	v_min_i32_e32 v6, v8, v6
	ds_bpermute_b32 v8, v26, v6
	s_wait_dscnt 0x0
	v_min_i32_e32 v20, v8, v6
	s_delay_alu instid0(VALU_DEP_1) | instskip(SKIP_1) | instid1(SALU_CYCLE_1)
	v_cmp_le_i32_e64 s0, s22, v20
	s_or_b32 s1, s0, s1
	s_and_not1_b32 exec_lo, exec_lo, s1
	s_cbranch_execz .LBB1_39
.LBB1_11:                               ; =>This Loop Header: Depth=1
                                        ;     Child Loop BB1_14 Depth 2
                                        ;     Child Loop BB1_27 Depth 2
	v_mov_b32_e32 v29, s22
	s_mov_b32 s21, exec_lo
	ds_store_b8 v27, v7
	ds_store_b128 v19, v[0:3]
	s_wait_dscnt 0x0
	v_cmpx_lt_i32_e64 v17, v14
	s_cbranch_execz .LBB1_24
; %bb.12:                               ;   in Loop: Header=BB1_11 Depth=1
	v_dual_mov_b32 v29, s22 :: v_dual_lshlrev_b32 v6, 2, v17
	s_mov_b32 s23, 0
	s_branch .LBB1_14
.LBB1_13:                               ;   in Loop: Header=BB1_14 Depth=2
	s_or_b32 exec_lo, exec_lo, s27
	s_delay_alu instid0(SALU_CYCLE_1) | instskip(NEXT) | instid1(SALU_CYCLE_1)
	s_and_b32 s0, exec_lo, s26
	s_or_b32 s23, s0, s23
	s_delay_alu instid0(SALU_CYCLE_1)
	s_and_not1_b32 exec_lo, exec_lo, s23
	s_cbranch_execz .LBB1_23
.LBB1_14:                               ;   Parent Loop BB1_11 Depth=1
                                        ; =>  This Inner Loop Header: Depth=2
	global_load_b32 v8, v17, s[10:11] scale_offset
	s_mov_b32 s26, exec_lo
	s_wait_loadcnt 0x0
	v_subrev_nc_u32_e32 v9, s4, v8
	s_delay_alu instid0(VALU_DEP_1) | instskip(NEXT) | instid1(VALU_DEP_1)
	v_sub_nc_u32_e32 v8, v9, v20
	v_cmp_gt_u32_e64 s0, 64, v8
	s_wait_xcnt 0x0
	v_cmpx_lt_u32_e32 63, v8
	s_xor_b32 s26, exec_lo, s26
; %bb.15:                               ;   in Loop: Header=BB1_14 Depth=2
	v_min_i32_e32 v29, v9, v29
                                        ; implicit-def: $vgpr8
; %bb.16:                               ;   in Loop: Header=BB1_14 Depth=2
	s_and_not1_saveexec_b32 s26, s26
	s_cbranch_execz .LBB1_21
; %bb.17:                               ;   in Loop: Header=BB1_14 Depth=2
	s_wait_kmcnt 0x0
	global_load_b32 v9, v6, s[8:9] scale_offset
	v_dual_lshlrev_b32 v10, 4, v8 :: v_dual_add_nc_u32 v11, v13, v8
	s_mov_b32 s27, -1
	s_and_not1_b32 vcc_lo, exec_lo, s7
	s_wait_loadcnt 0x0
	s_delay_alu instid0(VALU_DEP_1)
	v_dual_add_nc_u32 v10, v12, v10 :: v_dual_mul_f32 v30, s2, v9
	v_lshl_add_u64 v[8:9], v[6:7], 2, s[8:9]
	ds_store_b8 v11, v28
	ds_store_b32 v10, v30
	s_cbranch_vccnz .LBB1_19
; %bb.18:                               ;   in Loop: Header=BB1_14 Depth=2
	global_load_b96 v[30:32], v[8:9], off offset:4
	v_mov_b64_e32 v[34:35], s[2:3]
	s_mov_b32 s27, 0
	s_wait_loadcnt 0x0
	s_delay_alu instid0(VALU_DEP_1)
	v_pk_mul_f32 v[30:31], v[34:35], v[30:31] op_sel:[0,1] op_sel_hi:[1,0]
	v_mul_f32_e32 v11, s2, v32
	ds_store_2addr_b32 v10, v30, v31 offset0:1 offset1:2
	ds_store_b32 v10, v11 offset:12
.LBB1_19:                               ;   in Loop: Header=BB1_14 Depth=2
	s_and_not1_b32 vcc_lo, exec_lo, s27
	s_cbranch_vccnz .LBB1_21
; %bb.20:                               ;   in Loop: Header=BB1_14 Depth=2
	global_load_b96 v[30:32], v[8:9], off offset:4
	s_wait_xcnt 0x0
	v_mov_b64_e32 v[8:9], s[2:3]
	s_wait_loadcnt 0x0
	s_delay_alu instid0(VALU_DEP_1)
	v_pk_mul_f32 v[8:9], v[8:9], v[30:31]
	v_mul_f32_e32 v11, s2, v32
	ds_store_2addr_b32 v10, v8, v9 offset0:1 offset1:2
	ds_store_b32 v10, v11 offset:12
.LBB1_21:                               ;   in Loop: Header=BB1_14 Depth=2
	s_wait_xcnt 0x0
	s_or_b32 exec_lo, exec_lo, s26
	s_mov_b32 s26, -1
	s_and_saveexec_b32 s27, s0
	s_cbranch_execz .LBB1_13
; %bb.22:                               ;   in Loop: Header=BB1_14 Depth=2
	v_add_nc_u32_e32 v17, 64, v17
	v_add_nc_u32_e32 v6, 0x100, v6
	s_delay_alu instid0(VALU_DEP_2)
	v_cmp_ge_i32_e32 vcc_lo, v17, v14
	s_or_not1_b32 s26, vcc_lo, exec_lo
	s_branch .LBB1_13
.LBB1_23:                               ;   in Loop: Header=BB1_11 Depth=1
	s_or_b32 exec_lo, exec_lo, s23
.LBB1_24:                               ;   in Loop: Header=BB1_11 Depth=1
	s_delay_alu instid0(SALU_CYCLE_1) | instskip(NEXT) | instid1(SALU_CYCLE_1)
	s_or_b32 exec_lo, exec_lo, s21
	s_mov_b32 s21, exec_lo
	s_wait_dscnt 0x0
	v_cmpx_lt_i32_e64 v18, v15
	s_cbranch_execz .LBB1_37
; %bb.25:                               ;   in Loop: Header=BB1_11 Depth=1
	v_lshlrev_b32_e32 v6, 2, v18
	s_mov_b32 s23, 0
	s_branch .LBB1_27
.LBB1_26:                               ;   in Loop: Header=BB1_27 Depth=2
	s_or_b32 exec_lo, exec_lo, s27
	s_delay_alu instid0(SALU_CYCLE_1) | instskip(NEXT) | instid1(SALU_CYCLE_1)
	s_and_b32 s0, exec_lo, s26
	s_or_b32 s23, s0, s23
	s_delay_alu instid0(SALU_CYCLE_1)
	s_and_not1_b32 exec_lo, exec_lo, s23
	s_cbranch_execz .LBB1_36
.LBB1_27:                               ;   Parent Loop BB1_11 Depth=1
                                        ; =>  This Inner Loop Header: Depth=2
	global_load_b32 v8, v18, s[14:15] scale_offset
	s_mov_b32 s26, exec_lo
	s_wait_loadcnt 0x0
	v_subrev_nc_u32_e32 v8, s5, v8
	s_delay_alu instid0(VALU_DEP_1) | instskip(NEXT) | instid1(VALU_DEP_1)
	v_sub_nc_u32_e32 v10, v8, v20
	v_cmp_gt_u32_e64 s0, 64, v10
	s_wait_xcnt 0x0
	v_cmpx_lt_u32_e32 63, v10
	s_xor_b32 s26, exec_lo, s26
; %bb.28:                               ;   in Loop: Header=BB1_27 Depth=2
	v_min_i32_e32 v29, v8, v29
                                        ; implicit-def: $vgpr10
; %bb.29:                               ;   in Loop: Header=BB1_27 Depth=2
	s_and_not1_saveexec_b32 s26, s26
	s_cbranch_execz .LBB1_34
; %bb.30:                               ;   in Loop: Header=BB1_27 Depth=2
	s_wait_kmcnt 0x0
	global_load_b32 v11, v6, s[12:13] scale_offset
	v_dual_lshlrev_b32 v8, 4, v10 :: v_dual_add_nc_u32 v31, v13, v10
	s_mov_b32 s27, -1
	s_and_not1_b32 vcc_lo, exec_lo, s7
	s_delay_alu instid0(VALU_DEP_1)
	v_add_nc_u32_e32 v30, v12, v8
	ds_load_b64 v[8:9], v30
	s_wait_loadcnt_dscnt 0x0
	v_fmac_f32_e32 v8, s24, v11
	v_lshl_add_u64 v[10:11], v[6:7], 2, s[12:13]
	ds_store_b8 v31, v28
	ds_store_b32 v30, v8
	s_cbranch_vccnz .LBB1_32
; %bb.31:                               ;   in Loop: Header=BB1_27 Depth=2
	global_load_b96 v[32:34], v[10:11], off offset:4
	ds_load_b64 v[36:37], v30 offset:8
	v_mov_b64_e32 v[40:41], s[24:25]
	v_mov_b32_e32 v38, v9
	s_mov_b32 s27, 0
	s_wait_dscnt 0x0
	v_mov_b32_e32 v39, v36
	s_wait_loadcnt 0x0
	s_delay_alu instid0(VALU_DEP_1)
	v_pk_fma_f32 v[32:33], v[40:41], v[32:33], v[38:39] op_sel:[0,1,0] op_sel_hi:[1,0,1]
	v_fmac_f32_e32 v37, s24, v34
	ds_store_2addr_b32 v30, v32, v33 offset0:1 offset1:2
	ds_store_b32 v30, v37 offset:12
.LBB1_32:                               ;   in Loop: Header=BB1_27 Depth=2
	s_and_not1_b32 vcc_lo, exec_lo, s27
	s_cbranch_vccnz .LBB1_34
; %bb.33:                               ;   in Loop: Header=BB1_27 Depth=2
	global_load_b96 v[32:34], v[10:11], off offset:4
	s_wait_xcnt 0x0
	ds_load_b64 v[10:11], v30 offset:8
	v_mov_b64_e32 v[36:37], s[24:25]
	s_wait_dscnt 0x0
	v_dual_mov_b32 v8, v9 :: v_dual_mov_b32 v9, v10
	s_wait_loadcnt 0x0
	s_delay_alu instid0(VALU_DEP_1)
	v_pk_fma_f32 v[8:9], v[36:37], v[32:33], v[8:9]
	v_fmac_f32_e32 v11, s24, v34
	ds_store_2addr_b32 v30, v8, v9 offset0:1 offset1:2
	ds_store_b32 v30, v11 offset:12
.LBB1_34:                               ;   in Loop: Header=BB1_27 Depth=2
	s_wait_xcnt 0x0
	s_or_b32 exec_lo, exec_lo, s26
	s_mov_b32 s26, -1
	s_and_saveexec_b32 s27, s0
	s_cbranch_execz .LBB1_26
; %bb.35:                               ;   in Loop: Header=BB1_27 Depth=2
	v_add_nc_u32_e32 v18, 64, v18
	v_add_nc_u32_e32 v6, 0x100, v6
	s_delay_alu instid0(VALU_DEP_2)
	v_cmp_ge_i32_e32 vcc_lo, v18, v15
	s_or_not1_b32 s26, vcc_lo, exec_lo
	s_branch .LBB1_26
.LBB1_36:                               ;   in Loop: Header=BB1_11 Depth=1
	s_or_b32 exec_lo, exec_lo, s23
.LBB1_37:                               ;   in Loop: Header=BB1_11 Depth=1
	s_delay_alu instid0(SALU_CYCLE_1)
	s_or_b32 exec_lo, exec_lo, s21
	s_wait_dscnt 0x0
	ds_load_u8 v6, v27
	s_mov_b32 s21, exec_lo
	s_wait_dscnt 0x0
	v_and_b32_e32 v8, 1, v6
	v_cmp_ne_u16_e32 vcc_lo, 0, v6
	s_delay_alu instid0(VALU_DEP_2)
	v_cmpx_eq_u32_e32 1, v8
	s_cbranch_execz .LBB1_10
; %bb.38:                               ;   in Loop: Header=BB1_11 Depth=1
	v_dual_add_nc_u32 v8, s6, v19 :: v_dual_bitop2_b32 v6, vcc_lo, v4 bitop3:0x40
	ds_load_2addr_b32 v[30:31], v19 offset1:3
	v_add_nc_u32_e32 v20, v5, v20
	v_bcnt_u32_b32 v6, v6, 0
	s_delay_alu instid0(VALU_DEP_1) | instskip(NEXT) | instid1(VALU_DEP_1)
	v_add3_u32 v34, v16, v6, -1
	v_dual_add_nc_u32 v10, s20, v19 :: v_dual_lshlrev_b32 v6, 2, v34
	ds_load_b32 v9, v8
	ds_load_b32 v10, v10
	s_wait_kmcnt 0x0
	v_lshl_add_u64 v[32:33], v[6:7], 2, s[18:19]
	s_wait_dscnt 0x2
	v_dual_mov_b32 v8, v30 :: v_dual_mov_b32 v11, v31
	global_store_b32 v34, v20, s[16:17] scale_offset
	s_wait_dscnt 0x0
	global_store_b128 v[32:33], v[8:11], off
	s_branch .LBB1_10
.LBB1_39:
	s_endpgm
	.section	.rodata,"a",@progbits
	.p2align	6, 0x0
	.amdhsa_kernel _ZN9rocsparseL39bsrgeam_wf_per_row_multipass_2_3_kernelILj256ELj2ELj64EfEEv20rocsparse_direction_iiiNS_24const_host_device_scalarIT2_EEPKiS6_PKS3_S4_S6_S6_S8_S6_PiPS3_21rocsparse_index_base_SB_SB_b
		.amdhsa_group_segment_fixed_size 4352
		.amdhsa_private_segment_fixed_size 0
		.amdhsa_kernarg_size 120
		.amdhsa_user_sgpr_count 2
		.amdhsa_user_sgpr_dispatch_ptr 0
		.amdhsa_user_sgpr_queue_ptr 0
		.amdhsa_user_sgpr_kernarg_segment_ptr 1
		.amdhsa_user_sgpr_dispatch_id 0
		.amdhsa_user_sgpr_kernarg_preload_length 0
		.amdhsa_user_sgpr_kernarg_preload_offset 0
		.amdhsa_user_sgpr_private_segment_size 0
		.amdhsa_wavefront_size32 1
		.amdhsa_uses_dynamic_stack 0
		.amdhsa_enable_private_segment 0
		.amdhsa_system_sgpr_workgroup_id_x 1
		.amdhsa_system_sgpr_workgroup_id_y 0
		.amdhsa_system_sgpr_workgroup_id_z 0
		.amdhsa_system_sgpr_workgroup_info 0
		.amdhsa_system_vgpr_workitem_id 0
		.amdhsa_next_free_vgpr 42
		.amdhsa_next_free_sgpr 28
		.amdhsa_named_barrier_count 0
		.amdhsa_reserve_vcc 1
		.amdhsa_float_round_mode_32 0
		.amdhsa_float_round_mode_16_64 0
		.amdhsa_float_denorm_mode_32 3
		.amdhsa_float_denorm_mode_16_64 3
		.amdhsa_fp16_overflow 0
		.amdhsa_memory_ordered 1
		.amdhsa_forward_progress 1
		.amdhsa_inst_pref_size 15
		.amdhsa_round_robin_scheduling 0
		.amdhsa_exception_fp_ieee_invalid_op 0
		.amdhsa_exception_fp_denorm_src 0
		.amdhsa_exception_fp_ieee_div_zero 0
		.amdhsa_exception_fp_ieee_overflow 0
		.amdhsa_exception_fp_ieee_underflow 0
		.amdhsa_exception_fp_ieee_inexact 0
		.amdhsa_exception_int_div_zero 0
	.end_amdhsa_kernel
	.section	.text._ZN9rocsparseL39bsrgeam_wf_per_row_multipass_2_3_kernelILj256ELj2ELj64EfEEv20rocsparse_direction_iiiNS_24const_host_device_scalarIT2_EEPKiS6_PKS3_S4_S6_S6_S8_S6_PiPS3_21rocsparse_index_base_SB_SB_b,"axG",@progbits,_ZN9rocsparseL39bsrgeam_wf_per_row_multipass_2_3_kernelILj256ELj2ELj64EfEEv20rocsparse_direction_iiiNS_24const_host_device_scalarIT2_EEPKiS6_PKS3_S4_S6_S6_S8_S6_PiPS3_21rocsparse_index_base_SB_SB_b,comdat
.Lfunc_end1:
	.size	_ZN9rocsparseL39bsrgeam_wf_per_row_multipass_2_3_kernelILj256ELj2ELj64EfEEv20rocsparse_direction_iiiNS_24const_host_device_scalarIT2_EEPKiS6_PKS3_S4_S6_S6_S8_S6_PiPS3_21rocsparse_index_base_SB_SB_b, .Lfunc_end1-_ZN9rocsparseL39bsrgeam_wf_per_row_multipass_2_3_kernelILj256ELj2ELj64EfEEv20rocsparse_direction_iiiNS_24const_host_device_scalarIT2_EEPKiS6_PKS3_S4_S6_S6_S8_S6_PiPS3_21rocsparse_index_base_SB_SB_b
                                        ; -- End function
	.set _ZN9rocsparseL39bsrgeam_wf_per_row_multipass_2_3_kernelILj256ELj2ELj64EfEEv20rocsparse_direction_iiiNS_24const_host_device_scalarIT2_EEPKiS6_PKS3_S4_S6_S6_S8_S6_PiPS3_21rocsparse_index_base_SB_SB_b.num_vgpr, 42
	.set _ZN9rocsparseL39bsrgeam_wf_per_row_multipass_2_3_kernelILj256ELj2ELj64EfEEv20rocsparse_direction_iiiNS_24const_host_device_scalarIT2_EEPKiS6_PKS3_S4_S6_S6_S8_S6_PiPS3_21rocsparse_index_base_SB_SB_b.num_agpr, 0
	.set _ZN9rocsparseL39bsrgeam_wf_per_row_multipass_2_3_kernelILj256ELj2ELj64EfEEv20rocsparse_direction_iiiNS_24const_host_device_scalarIT2_EEPKiS6_PKS3_S4_S6_S6_S8_S6_PiPS3_21rocsparse_index_base_SB_SB_b.numbered_sgpr, 28
	.set _ZN9rocsparseL39bsrgeam_wf_per_row_multipass_2_3_kernelILj256ELj2ELj64EfEEv20rocsparse_direction_iiiNS_24const_host_device_scalarIT2_EEPKiS6_PKS3_S4_S6_S6_S8_S6_PiPS3_21rocsparse_index_base_SB_SB_b.num_named_barrier, 0
	.set _ZN9rocsparseL39bsrgeam_wf_per_row_multipass_2_3_kernelILj256ELj2ELj64EfEEv20rocsparse_direction_iiiNS_24const_host_device_scalarIT2_EEPKiS6_PKS3_S4_S6_S6_S8_S6_PiPS3_21rocsparse_index_base_SB_SB_b.private_seg_size, 0
	.set _ZN9rocsparseL39bsrgeam_wf_per_row_multipass_2_3_kernelILj256ELj2ELj64EfEEv20rocsparse_direction_iiiNS_24const_host_device_scalarIT2_EEPKiS6_PKS3_S4_S6_S6_S8_S6_PiPS3_21rocsparse_index_base_SB_SB_b.uses_vcc, 1
	.set _ZN9rocsparseL39bsrgeam_wf_per_row_multipass_2_3_kernelILj256ELj2ELj64EfEEv20rocsparse_direction_iiiNS_24const_host_device_scalarIT2_EEPKiS6_PKS3_S4_S6_S6_S8_S6_PiPS3_21rocsparse_index_base_SB_SB_b.uses_flat_scratch, 0
	.set _ZN9rocsparseL39bsrgeam_wf_per_row_multipass_2_3_kernelILj256ELj2ELj64EfEEv20rocsparse_direction_iiiNS_24const_host_device_scalarIT2_EEPKiS6_PKS3_S4_S6_S6_S8_S6_PiPS3_21rocsparse_index_base_SB_SB_b.has_dyn_sized_stack, 0
	.set _ZN9rocsparseL39bsrgeam_wf_per_row_multipass_2_3_kernelILj256ELj2ELj64EfEEv20rocsparse_direction_iiiNS_24const_host_device_scalarIT2_EEPKiS6_PKS3_S4_S6_S6_S8_S6_PiPS3_21rocsparse_index_base_SB_SB_b.has_recursion, 0
	.set _ZN9rocsparseL39bsrgeam_wf_per_row_multipass_2_3_kernelILj256ELj2ELj64EfEEv20rocsparse_direction_iiiNS_24const_host_device_scalarIT2_EEPKiS6_PKS3_S4_S6_S6_S8_S6_PiPS3_21rocsparse_index_base_SB_SB_b.has_indirect_call, 0
	.section	.AMDGPU.csdata,"",@progbits
; Kernel info:
; codeLenInByte = 1836
; TotalNumSgprs: 30
; NumVgprs: 42
; ScratchSize: 0
; MemoryBound: 0
; FloatMode: 240
; IeeeMode: 1
; LDSByteSize: 4352 bytes/workgroup (compile time only)
; SGPRBlocks: 0
; VGPRBlocks: 2
; NumSGPRsForWavesPerEU: 30
; NumVGPRsForWavesPerEU: 42
; NamedBarCnt: 0
; Occupancy: 16
; WaveLimiterHint : 1
; COMPUTE_PGM_RSRC2:SCRATCH_EN: 0
; COMPUTE_PGM_RSRC2:USER_SGPR: 2
; COMPUTE_PGM_RSRC2:TRAP_HANDLER: 0
; COMPUTE_PGM_RSRC2:TGID_X_EN: 1
; COMPUTE_PGM_RSRC2:TGID_Y_EN: 0
; COMPUTE_PGM_RSRC2:TGID_Z_EN: 0
; COMPUTE_PGM_RSRC2:TIDIG_COMP_CNT: 0
	.section	.text._ZN9rocsparseL39bsrgeam_wf_per_row_multipass_2_3_kernelILj256ELj3ELj32EfEEv20rocsparse_direction_iiiNS_24const_host_device_scalarIT2_EEPKiS6_PKS3_S4_S6_S6_S8_S6_PiPS3_21rocsparse_index_base_SB_SB_b,"axG",@progbits,_ZN9rocsparseL39bsrgeam_wf_per_row_multipass_2_3_kernelILj256ELj3ELj32EfEEv20rocsparse_direction_iiiNS_24const_host_device_scalarIT2_EEPKiS6_PKS3_S4_S6_S6_S8_S6_PiPS3_21rocsparse_index_base_SB_SB_b,comdat
	.globl	_ZN9rocsparseL39bsrgeam_wf_per_row_multipass_2_3_kernelILj256ELj3ELj32EfEEv20rocsparse_direction_iiiNS_24const_host_device_scalarIT2_EEPKiS6_PKS3_S4_S6_S6_S8_S6_PiPS3_21rocsparse_index_base_SB_SB_b ; -- Begin function _ZN9rocsparseL39bsrgeam_wf_per_row_multipass_2_3_kernelILj256ELj3ELj32EfEEv20rocsparse_direction_iiiNS_24const_host_device_scalarIT2_EEPKiS6_PKS3_S4_S6_S6_S8_S6_PiPS3_21rocsparse_index_base_SB_SB_b
	.p2align	8
	.type	_ZN9rocsparseL39bsrgeam_wf_per_row_multipass_2_3_kernelILj256ELj3ELj32EfEEv20rocsparse_direction_iiiNS_24const_host_device_scalarIT2_EEPKiS6_PKS3_S4_S6_S6_S8_S6_PiPS3_21rocsparse_index_base_SB_SB_b,@function
_ZN9rocsparseL39bsrgeam_wf_per_row_multipass_2_3_kernelILj256ELj3ELj32EfEEv20rocsparse_direction_iiiNS_24const_host_device_scalarIT2_EEPKiS6_PKS3_S4_S6_S6_S8_S6_PiPS3_21rocsparse_index_base_SB_SB_b: ; @_ZN9rocsparseL39bsrgeam_wf_per_row_multipass_2_3_kernelILj256ELj3ELj32EfEEv20rocsparse_direction_iiiNS_24const_host_device_scalarIT2_EEPKiS6_PKS3_S4_S6_S6_S8_S6_PiPS3_21rocsparse_index_base_SB_SB_b
; %bb.0:
	s_clause 0x2
	s_load_b128 s[4:7], s[0:1], 0x68
	s_load_b64 s[2:3], s[0:1], 0x10
	s_load_b64 s[24:25], s[0:1], 0x30
	s_wait_kmcnt 0x0
	s_bitcmp1_b32 s7, 0
	s_cselect_b32 s7, -1, 0
	s_delay_alu instid0(SALU_CYCLE_1)
	s_and_b32 vcc_lo, exec_lo, s7
	s_xor_b32 s7, s7, -1
	s_cbranch_vccnz .LBB2_2
; %bb.1:
	s_load_b32 s2, s[2:3], 0x0
.LBB2_2:
	s_and_not1_b32 vcc_lo, exec_lo, s7
	s_cbranch_vccnz .LBB2_4
; %bb.3:
	s_load_b32 s24, s[24:25], 0x0
.LBB2_4:
	s_nop 0
	s_load_b96 s[20:22], s[0:1], 0x0
	s_wait_xcnt 0x0
	s_bfe_u32 s3, ttmp6, 0x4000c
	s_and_b32 s7, ttmp6, 15
	s_add_co_i32 s3, s3, 1
	s_getreg_b32 s8, hwreg(HW_REG_IB_STS2, 6, 4)
	s_mul_i32 s3, ttmp9, s3
	v_lshrrev_b32_e32 v1, 5, v0
	s_add_co_i32 s7, s7, s3
	s_cmp_eq_u32 s8, 0
	s_cselect_b32 s3, ttmp9, s7
	s_delay_alu instid0(SALU_CYCLE_1) | instskip(NEXT) | instid1(SALU_CYCLE_1)
	s_lshl_b32 s3, s3, 3
	v_and_or_b32 v6, 0x7fffff8, s3, v1
	s_mov_b32 s3, exec_lo
	s_wait_kmcnt 0x0
	s_delay_alu instid0(VALU_DEP_1)
	v_cmpx_gt_i32_e64 s21, v6
	s_cbranch_execz .LBB2_39
; %bb.5:
	s_clause 0x2
	s_load_b128 s[8:11], s[0:1], 0x18
	s_load_b128 s[12:15], s[0:1], 0x38
	s_load_b64 s[16:17], s[0:1], 0x50
	v_lshlrev_b32_e32 v7, 2, v6
	s_wait_kmcnt 0x0
	s_clause 0x1
	global_load_b64 v[2:3], v7, s[8:9]
	global_load_b64 v[4:5], v7, s[12:13]
	global_load_b32 v10, v6, s[16:17] scale_offset
	s_wait_loadcnt 0x2
	v_subrev_nc_u32_e32 v11, s4, v2
	v_cmp_lt_i32_e32 vcc_lo, v2, v3
	v_mov_b32_e32 v2, s22
	s_wait_xcnt 0x0
	s_and_saveexec_b32 s3, vcc_lo
	s_cbranch_execz .LBB2_7
; %bb.6:
	global_load_b32 v2, v11, s[10:11] scale_offset
	s_wait_loadcnt 0x0
	v_subrev_nc_u32_e32 v2, s4, v2
.LBB2_7:
	s_or_b32 exec_lo, exec_lo, s3
	s_clause 0x2
	s_load_b128 s[16:19], s[0:1], 0x58
	s_load_b64 s[8:9], s[0:1], 0x28
	s_load_b64 s[12:13], s[0:1], 0x48
	s_wait_loadcnt 0x1
	v_subrev_nc_u32_e32 v12, s5, v4
	v_cmp_lt_i32_e32 vcc_lo, v4, v5
	v_mov_b32_e32 v4, s22
	s_wait_xcnt 0x0
	s_and_saveexec_b32 s0, vcc_lo
	s_cbranch_execz .LBB2_9
; %bb.8:
	global_load_b32 v4, v12, s[14:15] scale_offset
	s_wait_loadcnt 0x0
	v_subrev_nc_u32_e32 v4, s5, v4
.LBB2_9:
	s_or_b32 exec_lo, exec_lo, s0
	v_and_b32_e32 v21, 31, v0
	v_subrev_nc_u32_e32 v8, s4, v3
	s_movk_i32 s0, 0xe0
	v_mul_u32_u24_e32 v7, 0x480, v1
	v_and_or_b32 v6, v0, s0, 0x2400
	v_mul_u32_u24_e32 v3, 36, v21
	v_bitop3_b32 v0, v0, 31, v0 bitop3:0xc
	v_min_i32_e32 v23, v4, v2
	v_subrev_nc_u32_e32 v9, s5, v5
	s_cmp_lg_u32 s20, 0
	v_mad_u32_u24 v13, 0x480, v1, v3
	v_mbcnt_lo_u32_b32 v1, -1, 0
	v_lshrrev_b32_e64 v14, v0, -1
	s_wait_loadcnt 0x0
	v_subrev_nc_u32_e32 v10, s6, v10
	v_mov_b32_e32 v22, 1
	s_cselect_b32 s7, -1, 0
	v_xor_b32_e32 v4, 2, v1
	v_xor_b32_e32 v3, 4, v1
	;; [unrolled: 1-line block ×4, first 2 shown]
	s_cmp_eq_u32 s20, 0
	s_mov_b32 s1, 0
	s_cselect_b32 s20, 8, 24
	s_cselect_b32 s21, 12, 4
	v_cmp_gt_i32_e32 vcc_lo, 32, v2
	s_cselect_b32 s23, 20, 28
	s_cselect_b32 s26, 24, 8
	;; [unrolled: 1-line block ×3, first 2 shown]
	s_mov_b32 s3, s2
	v_cndmask_b32_e32 v2, v1, v2, vcc_lo
	v_cmp_gt_i32_e32 vcc_lo, 32, v0
	v_dual_add_nc_u32 v11, v11, v21 :: v_dual_add_nc_u32 v12, v12, v21
	s_delay_alu instid0(VALU_DEP_3)
	v_dual_add_nc_u32 v15, s6, v21 :: v_dual_lshlrev_b32 v16, 2, v2
	v_cndmask_b32_e32 v0, v1, v0, vcc_lo
	v_cmp_gt_i32_e32 vcc_lo, 32, v3
	v_xor_b32_e32 v5, 1, v1
	v_add_nc_u32_e32 v21, v6, v21
	s_cselect_b32 s6, 4, 12
	v_dual_lshlrev_b32 v17, 2, v0 :: v_dual_cndmask_b32 v3, v1, v3, vcc_lo
	v_cmp_gt_i32_e32 vcc_lo, 32, v4
	s_mov_b32 s25, s24
	s_delay_alu instid0(VALU_DEP_2) | instskip(SKIP_1) | instid1(VALU_DEP_2)
	v_dual_lshlrev_b32 v18, 2, v3 :: v_dual_cndmask_b32 v4, v1, v4, vcc_lo
	v_cmp_gt_i32_e32 vcc_lo, 32, v5
	v_dual_cndmask_b32 v1, v1, v5, vcc_lo :: v_dual_lshlrev_b32 v19, 2, v4
	s_delay_alu instid0(VALU_DEP_1)
	v_dual_mov_b32 v1, 0 :: v_dual_lshlrev_b32 v20, 2, v1
	s_branch .LBB2_11
.LBB2_10:                               ;   in Loop: Header=BB2_11 Depth=1
	s_wait_xcnt 0x0
	s_or_b32 exec_lo, exec_lo, s28
	ds_bpermute_b32 v0, v16, v24
	s_bcnt1_i32_b32 s28, vcc_lo
	s_wait_dscnt 0x0
	v_dual_add_nc_u32 v10, s28, v10 :: v_dual_min_i32 v0, v0, v24
	ds_bpermute_b32 v2, v17, v0
	s_wait_dscnt 0x0
	v_min_i32_e32 v0, v2, v0
	ds_bpermute_b32 v2, v18, v0
	s_wait_dscnt 0x0
	v_min_i32_e32 v0, v2, v0
	ds_bpermute_b32 v2, v19, v0
	s_wait_dscnt 0x0
	v_min_i32_e32 v0, v2, v0
	ds_bpermute_b32 v2, v20, v0
	s_wait_dscnt 0x0
	v_min_i32_e32 v23, v2, v0
	s_delay_alu instid0(VALU_DEP_1) | instskip(SKIP_1) | instid1(SALU_CYCLE_1)
	v_cmp_le_i32_e64 s0, s22, v23
	s_or_b32 s1, s0, s1
	s_and_not1_b32 exec_lo, exec_lo, s1
	s_cbranch_execz .LBB2_39
.LBB2_11:                               ; =>This Loop Header: Depth=1
                                        ;     Child Loop BB2_14 Depth 2
                                        ;     Child Loop BB2_27 Depth 2
	v_mov_b32_e32 v24, s22
	s_mov_b32 s28, exec_lo
	ds_store_2addr_b32 v13, v1, v1 offset1:1
	ds_store_2addr_b32 v13, v1, v1 offset0:2 offset1:3
	ds_store_2addr_b32 v13, v1, v1 offset0:4 offset1:5
	;; [unrolled: 1-line block ×3, first 2 shown]
	ds_store_b8 v21, v1
	ds_store_b32 v13, v1 offset:32
	s_wait_dscnt 0x0
	v_cmpx_lt_i32_e64 v11, v8
	s_cbranch_execz .LBB2_24
; %bb.12:                               ;   in Loop: Header=BB2_11 Depth=1
	v_mad_u32 v4, v11, 9, 8
	v_mov_b32_e32 v24, s22
	s_mov_b32 s29, 0
	s_branch .LBB2_14
.LBB2_13:                               ;   in Loop: Header=BB2_14 Depth=2
	s_or_b32 exec_lo, exec_lo, s31
	s_delay_alu instid0(SALU_CYCLE_1) | instskip(NEXT) | instid1(SALU_CYCLE_1)
	s_and_b32 s0, exec_lo, s30
	s_or_b32 s29, s0, s29
	s_delay_alu instid0(SALU_CYCLE_1)
	s_and_not1_b32 exec_lo, exec_lo, s29
	s_cbranch_execz .LBB2_23
.LBB2_14:                               ;   Parent Loop BB2_11 Depth=1
                                        ; =>  This Inner Loop Header: Depth=2
	global_load_b32 v0, v11, s[10:11] scale_offset
	s_mov_b32 s30, exec_lo
	s_wait_loadcnt 0x0
	v_subrev_nc_u32_e32 v2, s4, v0
	s_delay_alu instid0(VALU_DEP_1) | instskip(NEXT) | instid1(VALU_DEP_1)
	v_sub_nc_u32_e32 v0, v2, v23
	v_cmp_gt_u32_e64 s0, 32, v0
	s_wait_xcnt 0x0
	v_cmpx_lt_u32_e32 31, v0
	s_xor_b32 s30, exec_lo, s30
; %bb.15:                               ;   in Loop: Header=BB2_14 Depth=2
	v_min_i32_e32 v24, v2, v24
                                        ; implicit-def: $vgpr0
; %bb.16:                               ;   in Loop: Header=BB2_14 Depth=2
	s_and_not1_saveexec_b32 s30, s30
	s_cbranch_execz .LBB2_21
; %bb.17:                               ;   in Loop: Header=BB2_14 Depth=2
	v_add_nc_u32_e32 v2, -8, v4
	v_mul_lo_u32 v29, v0, 36
	v_add_nc_u32_e32 v30, v6, v0
	v_dual_add_nc_u32 v0, -4, v4 :: v_dual_add_nc_u32 v25, -5, v4
	v_add_nc_u32_e32 v5, -2, v4
	s_wait_kmcnt 0x0
	global_load_b32 v28, v2, s[8:9] scale_offset
	v_dual_add_nc_u32 v27, -7, v4 :: v_dual_add_nc_u32 v26, -1, v4
	s_wait_xcnt 0x0
	v_lshl_add_u64 v[2:3], v[0:1], 2, s[8:9]
	s_mov_b32 s31, -1
	s_and_not1_b32 vcc_lo, exec_lo, s7
	v_dual_add_nc_u32 v0, v7, v29 :: v_dual_add_nc_u32 v29, -6, v4
	s_wait_loadcnt 0x0
	v_mul_f32_e32 v31, s2, v28
	v_add_nc_u32_e32 v28, -3, v4
	ds_store_b8 v30, v22
	ds_store_b32 v0, v31
	s_cbranch_vccnz .LBB2_19
; %bb.18:                               ;   in Loop: Header=BB2_14 Depth=2
	s_clause 0x7
	global_load_b32 v30, v25, s[8:9] scale_offset
	global_load_b32 v31, v5, s[8:9] scale_offset
	global_load_b32 v32, v27, s[8:9] scale_offset
	global_load_b32 v34, v26, s[8:9] scale_offset
	global_load_b32 v35, v29, s[8:9] scale_offset
	global_load_b32 v36, v28, s[8:9] scale_offset
	global_load_b32 v37, v4, s[8:9] scale_offset
	global_load_b32 v33, v[2:3], off
	v_mov_b64_e32 v[38:39], s[2:3]
	s_mov_b32 s31, 0
	s_wait_loadcnt 0x6
	s_delay_alu instid0(VALU_DEP_1)
	v_pk_mul_f32 v[30:31], v[38:39], v[30:31]
	s_wait_loadcnt 0x3
	v_pk_mul_f32 v[34:35], v[38:39], v[34:35]
	s_wait_loadcnt 0x1
	;; [unrolled: 2-line block ×3, first 2 shown]
	v_pk_mul_f32 v[32:33], v[38:39], v[32:33]
	ds_store_2addr_b32 v0, v30, v31 offset0:1 offset1:2
	ds_store_2addr_b32 v0, v32, v33 offset0:3 offset1:4
	;; [unrolled: 1-line block ×4, first 2 shown]
.LBB2_19:                               ;   in Loop: Header=BB2_14 Depth=2
	s_and_not1_b32 vcc_lo, exec_lo, s31
	s_cbranch_vccnz .LBB2_21
; %bb.20:                               ;   in Loop: Header=BB2_14 Depth=2
	s_clause 0x7
	global_load_b32 v30, v27, s[8:9] scale_offset
	global_load_b32 v31, v29, s[8:9] scale_offset
	;; [unrolled: 1-line block ×7, first 2 shown]
	global_load_b32 v33, v[2:3], off
	s_wait_xcnt 0x0
	v_mov_b64_e32 v[2:3], s[2:3]
	s_wait_loadcnt 0x6
	s_delay_alu instid0(VALU_DEP_1)
	v_pk_mul_f32 v[26:27], v[2:3], v[30:31]
	s_wait_loadcnt 0x1
	v_pk_mul_f32 v[30:31], v[2:3], v[34:35]
	s_wait_loadcnt 0x0
	v_pk_mul_f32 v[28:29], v[2:3], v[32:33]
	v_pk_mul_f32 v[2:3], v[2:3], v[36:37]
	ds_store_2addr_b32 v0, v26, v27 offset0:1 offset1:2
	ds_store_2addr_b32 v0, v28, v29 offset0:3 offset1:4
	ds_store_2addr_b32 v0, v30, v31 offset0:5 offset1:6
	ds_store_2addr_b32 v0, v2, v3 offset0:7 offset1:8
.LBB2_21:                               ;   in Loop: Header=BB2_14 Depth=2
	s_wait_xcnt 0x0
	s_or_b32 exec_lo, exec_lo, s30
	s_mov_b32 s30, -1
	s_and_saveexec_b32 s31, s0
	s_cbranch_execz .LBB2_13
; %bb.22:                               ;   in Loop: Header=BB2_14 Depth=2
	v_add_nc_u32_e32 v11, 32, v11
	v_add_nc_u32_e32 v4, 0x120, v4
	s_delay_alu instid0(VALU_DEP_2)
	v_cmp_ge_i32_e32 vcc_lo, v11, v8
	s_or_not1_b32 s30, vcc_lo, exec_lo
	s_branch .LBB2_13
.LBB2_23:                               ;   in Loop: Header=BB2_11 Depth=1
	s_or_b32 exec_lo, exec_lo, s29
.LBB2_24:                               ;   in Loop: Header=BB2_11 Depth=1
	s_delay_alu instid0(SALU_CYCLE_1) | instskip(NEXT) | instid1(SALU_CYCLE_1)
	s_or_b32 exec_lo, exec_lo, s28
	s_mov_b32 s28, exec_lo
	s_wait_dscnt 0x0
	v_cmpx_lt_i32_e64 v12, v9
	s_cbranch_execz .LBB2_37
; %bb.25:                               ;   in Loop: Header=BB2_11 Depth=1
	v_mad_u32 v25, v12, 9, 8
	s_mov_b32 s29, 0
	s_branch .LBB2_27
.LBB2_26:                               ;   in Loop: Header=BB2_27 Depth=2
	s_or_b32 exec_lo, exec_lo, s31
	s_delay_alu instid0(SALU_CYCLE_1) | instskip(NEXT) | instid1(SALU_CYCLE_1)
	s_and_b32 s0, exec_lo, s30
	s_or_b32 s29, s0, s29
	s_delay_alu instid0(SALU_CYCLE_1)
	s_and_not1_b32 exec_lo, exec_lo, s29
	s_cbranch_execz .LBB2_36
.LBB2_27:                               ;   Parent Loop BB2_11 Depth=1
                                        ; =>  This Inner Loop Header: Depth=2
	global_load_b32 v0, v12, s[14:15] scale_offset
	s_mov_b32 s30, exec_lo
	s_wait_loadcnt 0x0
	v_subrev_nc_u32_e32 v2, s5, v0
	s_delay_alu instid0(VALU_DEP_1) | instskip(NEXT) | instid1(VALU_DEP_1)
	v_sub_nc_u32_e32 v0, v2, v23
	v_cmp_gt_u32_e64 s0, 32, v0
	s_wait_xcnt 0x0
	v_cmpx_lt_u32_e32 31, v0
	s_xor_b32 s30, exec_lo, s30
; %bb.28:                               ;   in Loop: Header=BB2_27 Depth=2
	v_min_i32_e32 v24, v2, v24
                                        ; implicit-def: $vgpr0
; %bb.29:                               ;   in Loop: Header=BB2_27 Depth=2
	s_and_not1_saveexec_b32 s30, s30
	s_cbranch_execz .LBB2_34
; %bb.30:                               ;   in Loop: Header=BB2_27 Depth=2
	v_dual_add_nc_u32 v2, -8, v25 :: v_dual_add_nc_u32 v32, v6, v0
	v_dual_add_nc_u32 v27, -5, v25 :: v_dual_add_nc_u32 v29, -2, v25
	v_dual_add_nc_u32 v28, -7, v25 :: v_dual_add_nc_u32 v30, -1, v25
	s_wait_kmcnt 0x0
	global_load_b32 v31, v2, s[12:13] scale_offset
	s_wait_xcnt 0x0
	v_mul_lo_u32 v2, v0, 36
	s_mov_b32 s31, -1
	s_and_not1_b32 vcc_lo, exec_lo, s7
	v_add_nc_u32_e32 v0, -4, v25
	s_delay_alu instid0(VALU_DEP_1) | instskip(NEXT) | instid1(VALU_DEP_3)
	v_lshl_add_u64 v[4:5], v[0:1], 2, s[12:13]
	v_dual_add_nc_u32 v0, -6, v25 :: v_dual_add_nc_u32 v26, v7, v2
	ds_load_2addr_b32 v[2:3], v26 offset1:1
	s_wait_loadcnt_dscnt 0x0
	v_dual_fmac_f32 v2, s24, v31 :: v_dual_add_nc_u32 v31, -3, v25
	ds_store_b8 v32, v22
	ds_store_b32 v26, v2
	s_cbranch_vccnz .LBB2_32
; %bb.31:                               ;   in Loop: Header=BB2_27 Depth=2
	s_clause 0x7
	global_load_b32 v33, v[4:5], off
	global_load_b32 v34, v27, s[12:13] scale_offset
	global_load_b32 v35, v29, s[12:13] scale_offset
	;; [unrolled: 1-line block ×7, first 2 shown]
	ds_load_b32 v41, v26 offset:8
	ds_load_2addr_b32 v[42:43], v26 offset0:3 offset1:4
	ds_load_2addr_b32 v[44:45], v26 offset0:5 offset1:6
	;; [unrolled: 1-line block ×3, first 2 shown]
	v_mov_b64_e32 v[48:49], s[24:25]
	v_mov_b32_e32 v40, v3
	s_mov_b32 s31, 0
	s_wait_loadcnt_dscnt 0x503
	s_delay_alu instid0(VALU_DEP_1)
	v_pk_fma_f32 v[34:35], v[48:49], v[34:35], v[40:41]
	s_wait_loadcnt_dscnt 0x402
	v_pk_fma_f32 v[32:33], v[48:49], v[32:33], v[42:43]
	s_wait_loadcnt_dscnt 0x201
	;; [unrolled: 2-line block ×3, first 2 shown]
	v_pk_fma_f32 v[38:39], v[48:49], v[38:39], v[46:47]
	ds_store_2addr_b32 v26, v34, v35 offset0:1 offset1:2
	ds_store_2addr_b32 v26, v32, v33 offset0:3 offset1:4
	;; [unrolled: 1-line block ×4, first 2 shown]
.LBB2_32:                               ;   in Loop: Header=BB2_27 Depth=2
	s_and_not1_b32 vcc_lo, exec_lo, s31
	s_cbranch_vccnz .LBB2_34
; %bb.33:                               ;   in Loop: Header=BB2_27 Depth=2
	s_clause 0x7
	global_load_b32 v33, v[4:5], off
	global_load_b32 v34, v28, s[12:13] scale_offset
	global_load_b32 v35, v0, s[12:13] scale_offset
	global_load_b32 v32, v27, s[12:13] scale_offset
	global_load_b32 v36, v31, s[12:13] scale_offset
	global_load_b32 v39, v25, s[12:13] scale_offset
	global_load_b32 v38, v30, s[12:13] scale_offset
	global_load_b32 v37, v29, s[12:13] scale_offset
	s_wait_xcnt 0x7
	ds_load_b32 v5, v26 offset:8
	s_wait_xcnt 0x0
	ds_load_2addr_b32 v[28:29], v26 offset0:3 offset1:4
	ds_load_2addr_b32 v[30:31], v26 offset0:5 offset1:6
	;; [unrolled: 1-line block ×3, first 2 shown]
	v_mov_b32_e32 v4, v3
	v_mov_b64_e32 v[2:3], s[24:25]
	s_wait_loadcnt_dscnt 0x503
	s_delay_alu instid0(VALU_DEP_1)
	v_pk_fma_f32 v[4:5], v[2:3], v[34:35], v[4:5]
	s_wait_loadcnt_dscnt 0x402
	v_pk_fma_f32 v[28:29], v[2:3], v[32:33], v[28:29]
	s_wait_loadcnt_dscnt 0x1
	v_pk_fma_f32 v[30:31], v[2:3], v[36:37], v[30:31]
	s_wait_dscnt 0x0
	v_pk_fma_f32 v[2:3], v[2:3], v[38:39], v[40:41]
	ds_store_2addr_b32 v26, v4, v5 offset0:1 offset1:2
	ds_store_2addr_b32 v26, v28, v29 offset0:3 offset1:4
	;; [unrolled: 1-line block ×4, first 2 shown]
.LBB2_34:                               ;   in Loop: Header=BB2_27 Depth=2
	s_wait_xcnt 0x0
	s_or_b32 exec_lo, exec_lo, s30
	s_mov_b32 s30, -1
	s_and_saveexec_b32 s31, s0
	s_cbranch_execz .LBB2_26
; %bb.35:                               ;   in Loop: Header=BB2_27 Depth=2
	v_add_nc_u32_e32 v12, 32, v12
	v_add_nc_u32_e32 v25, 0x120, v25
	s_delay_alu instid0(VALU_DEP_2)
	v_cmp_ge_i32_e32 vcc_lo, v12, v9
	s_or_not1_b32 s30, vcc_lo, exec_lo
	s_branch .LBB2_26
.LBB2_36:                               ;   in Loop: Header=BB2_11 Depth=1
	s_or_b32 exec_lo, exec_lo, s29
.LBB2_37:                               ;   in Loop: Header=BB2_11 Depth=1
	s_delay_alu instid0(SALU_CYCLE_1)
	s_or_b32 exec_lo, exec_lo, s28
	s_wait_dscnt 0x0
	ds_load_u8 v0, v21
	s_mov_b32 s28, exec_lo
	s_wait_dscnt 0x0
	v_and_b32_e32 v2, 1, v0
	v_cmp_ne_u16_e32 vcc_lo, 0, v0
	s_delay_alu instid0(VALU_DEP_2)
	v_cmpx_eq_u32_e32 1, v2
	s_cbranch_execz .LBB2_10
; %bb.38:                               ;   in Loop: Header=BB2_11 Depth=1
	v_dual_add_nc_u32 v5, s6, v13 :: v_dual_add_nc_u32 v25, s21, v13
	v_dual_add_nc_u32 v26, s23, v13 :: v_dual_bitop2_b32 v0, vcc_lo, v14 bitop3:0x40
	v_dual_add_nc_u32 v4, v15, v23 :: v_dual_add_nc_u32 v23, s20, v13
	v_dual_add_nc_u32 v27, s26, v13 :: v_dual_add_nc_u32 v28, s27, v13
	ds_load_2addr_b32 v[2:3], v13 offset1:4
	ds_load_b32 v5, v5
	ds_load_b32 v23, v23
	;; [unrolled: 1-line block ×6, first 2 shown]
	ds_load_b32 v30, v13 offset:32
	v_bcnt_u32_b32 v0, v0, 0
	s_delay_alu instid0(VALU_DEP_1) | instskip(NEXT) | instid1(VALU_DEP_1)
	v_add3_u32 v0, v10, v0, -1
	v_lshl_add_u32 v29, v0, 3, v0
	s_wait_kmcnt 0x0
	global_store_b32 v0, v4, s[16:17] scale_offset
	s_wait_xcnt 0x0
	v_dual_add_nc_u32 v0, 1, v29 :: v_dual_add_nc_u32 v4, 2, v29
	v_dual_add_nc_u32 v31, 3, v29 :: v_dual_add_nc_u32 v32, 4, v29
	;; [unrolled: 1-line block ×4, first 2 shown]
	s_wait_dscnt 0x7
	global_store_b32 v29, v2, s[18:19] scale_offset
	s_wait_dscnt 0x6
	global_store_b32 v0, v5, s[18:19] scale_offset
	;; [unrolled: 2-line block ×3, first 2 shown]
	s_wait_dscnt 0x4
	s_clause 0x1
	global_store_b32 v31, v25, s[18:19] scale_offset
	global_store_b32 v32, v3, s[18:19] scale_offset
	s_wait_dscnt 0x3
	global_store_b32 v33, v26, s[18:19] scale_offset
	s_wait_dscnt 0x2
	;; [unrolled: 2-line block ×4, first 2 shown]
	global_store_b32 v36, v30, s[18:19] scale_offset
	s_branch .LBB2_10
.LBB2_39:
	s_endpgm
	.section	.rodata,"a",@progbits
	.p2align	6, 0x0
	.amdhsa_kernel _ZN9rocsparseL39bsrgeam_wf_per_row_multipass_2_3_kernelILj256ELj3ELj32EfEEv20rocsparse_direction_iiiNS_24const_host_device_scalarIT2_EEPKiS6_PKS3_S4_S6_S6_S8_S6_PiPS3_21rocsparse_index_base_SB_SB_b
		.amdhsa_group_segment_fixed_size 9472
		.amdhsa_private_segment_fixed_size 0
		.amdhsa_kernarg_size 120
		.amdhsa_user_sgpr_count 2
		.amdhsa_user_sgpr_dispatch_ptr 0
		.amdhsa_user_sgpr_queue_ptr 0
		.amdhsa_user_sgpr_kernarg_segment_ptr 1
		.amdhsa_user_sgpr_dispatch_id 0
		.amdhsa_user_sgpr_kernarg_preload_length 0
		.amdhsa_user_sgpr_kernarg_preload_offset 0
		.amdhsa_user_sgpr_private_segment_size 0
		.amdhsa_wavefront_size32 1
		.amdhsa_uses_dynamic_stack 0
		.amdhsa_enable_private_segment 0
		.amdhsa_system_sgpr_workgroup_id_x 1
		.amdhsa_system_sgpr_workgroup_id_y 0
		.amdhsa_system_sgpr_workgroup_id_z 0
		.amdhsa_system_sgpr_workgroup_info 0
		.amdhsa_system_vgpr_workitem_id 0
		.amdhsa_next_free_vgpr 50
		.amdhsa_next_free_sgpr 32
		.amdhsa_named_barrier_count 0
		.amdhsa_reserve_vcc 1
		.amdhsa_float_round_mode_32 0
		.amdhsa_float_round_mode_16_64 0
		.amdhsa_float_denorm_mode_32 3
		.amdhsa_float_denorm_mode_16_64 3
		.amdhsa_fp16_overflow 0
		.amdhsa_memory_ordered 1
		.amdhsa_forward_progress 1
		.amdhsa_inst_pref_size 22
		.amdhsa_round_robin_scheduling 0
		.amdhsa_exception_fp_ieee_invalid_op 0
		.amdhsa_exception_fp_denorm_src 0
		.amdhsa_exception_fp_ieee_div_zero 0
		.amdhsa_exception_fp_ieee_overflow 0
		.amdhsa_exception_fp_ieee_underflow 0
		.amdhsa_exception_fp_ieee_inexact 0
		.amdhsa_exception_int_div_zero 0
	.end_amdhsa_kernel
	.section	.text._ZN9rocsparseL39bsrgeam_wf_per_row_multipass_2_3_kernelILj256ELj3ELj32EfEEv20rocsparse_direction_iiiNS_24const_host_device_scalarIT2_EEPKiS6_PKS3_S4_S6_S6_S8_S6_PiPS3_21rocsparse_index_base_SB_SB_b,"axG",@progbits,_ZN9rocsparseL39bsrgeam_wf_per_row_multipass_2_3_kernelILj256ELj3ELj32EfEEv20rocsparse_direction_iiiNS_24const_host_device_scalarIT2_EEPKiS6_PKS3_S4_S6_S6_S8_S6_PiPS3_21rocsparse_index_base_SB_SB_b,comdat
.Lfunc_end2:
	.size	_ZN9rocsparseL39bsrgeam_wf_per_row_multipass_2_3_kernelILj256ELj3ELj32EfEEv20rocsparse_direction_iiiNS_24const_host_device_scalarIT2_EEPKiS6_PKS3_S4_S6_S6_S8_S6_PiPS3_21rocsparse_index_base_SB_SB_b, .Lfunc_end2-_ZN9rocsparseL39bsrgeam_wf_per_row_multipass_2_3_kernelILj256ELj3ELj32EfEEv20rocsparse_direction_iiiNS_24const_host_device_scalarIT2_EEPKiS6_PKS3_S4_S6_S6_S8_S6_PiPS3_21rocsparse_index_base_SB_SB_b
                                        ; -- End function
	.set _ZN9rocsparseL39bsrgeam_wf_per_row_multipass_2_3_kernelILj256ELj3ELj32EfEEv20rocsparse_direction_iiiNS_24const_host_device_scalarIT2_EEPKiS6_PKS3_S4_S6_S6_S8_S6_PiPS3_21rocsparse_index_base_SB_SB_b.num_vgpr, 50
	.set _ZN9rocsparseL39bsrgeam_wf_per_row_multipass_2_3_kernelILj256ELj3ELj32EfEEv20rocsparse_direction_iiiNS_24const_host_device_scalarIT2_EEPKiS6_PKS3_S4_S6_S6_S8_S6_PiPS3_21rocsparse_index_base_SB_SB_b.num_agpr, 0
	.set _ZN9rocsparseL39bsrgeam_wf_per_row_multipass_2_3_kernelILj256ELj3ELj32EfEEv20rocsparse_direction_iiiNS_24const_host_device_scalarIT2_EEPKiS6_PKS3_S4_S6_S6_S8_S6_PiPS3_21rocsparse_index_base_SB_SB_b.numbered_sgpr, 32
	.set _ZN9rocsparseL39bsrgeam_wf_per_row_multipass_2_3_kernelILj256ELj3ELj32EfEEv20rocsparse_direction_iiiNS_24const_host_device_scalarIT2_EEPKiS6_PKS3_S4_S6_S6_S8_S6_PiPS3_21rocsparse_index_base_SB_SB_b.num_named_barrier, 0
	.set _ZN9rocsparseL39bsrgeam_wf_per_row_multipass_2_3_kernelILj256ELj3ELj32EfEEv20rocsparse_direction_iiiNS_24const_host_device_scalarIT2_EEPKiS6_PKS3_S4_S6_S6_S8_S6_PiPS3_21rocsparse_index_base_SB_SB_b.private_seg_size, 0
	.set _ZN9rocsparseL39bsrgeam_wf_per_row_multipass_2_3_kernelILj256ELj3ELj32EfEEv20rocsparse_direction_iiiNS_24const_host_device_scalarIT2_EEPKiS6_PKS3_S4_S6_S6_S8_S6_PiPS3_21rocsparse_index_base_SB_SB_b.uses_vcc, 1
	.set _ZN9rocsparseL39bsrgeam_wf_per_row_multipass_2_3_kernelILj256ELj3ELj32EfEEv20rocsparse_direction_iiiNS_24const_host_device_scalarIT2_EEPKiS6_PKS3_S4_S6_S6_S8_S6_PiPS3_21rocsparse_index_base_SB_SB_b.uses_flat_scratch, 0
	.set _ZN9rocsparseL39bsrgeam_wf_per_row_multipass_2_3_kernelILj256ELj3ELj32EfEEv20rocsparse_direction_iiiNS_24const_host_device_scalarIT2_EEPKiS6_PKS3_S4_S6_S6_S8_S6_PiPS3_21rocsparse_index_base_SB_SB_b.has_dyn_sized_stack, 0
	.set _ZN9rocsparseL39bsrgeam_wf_per_row_multipass_2_3_kernelILj256ELj3ELj32EfEEv20rocsparse_direction_iiiNS_24const_host_device_scalarIT2_EEPKiS6_PKS3_S4_S6_S6_S8_S6_PiPS3_21rocsparse_index_base_SB_SB_b.has_recursion, 0
	.set _ZN9rocsparseL39bsrgeam_wf_per_row_multipass_2_3_kernelILj256ELj3ELj32EfEEv20rocsparse_direction_iiiNS_24const_host_device_scalarIT2_EEPKiS6_PKS3_S4_S6_S6_S8_S6_PiPS3_21rocsparse_index_base_SB_SB_b.has_indirect_call, 0
	.section	.AMDGPU.csdata,"",@progbits
; Kernel info:
; codeLenInByte = 2740
; TotalNumSgprs: 34
; NumVgprs: 50
; ScratchSize: 0
; MemoryBound: 0
; FloatMode: 240
; IeeeMode: 1
; LDSByteSize: 9472 bytes/workgroup (compile time only)
; SGPRBlocks: 0
; VGPRBlocks: 3
; NumSGPRsForWavesPerEU: 34
; NumVGPRsForWavesPerEU: 50
; NamedBarCnt: 0
; Occupancy: 16
; WaveLimiterHint : 1
; COMPUTE_PGM_RSRC2:SCRATCH_EN: 0
; COMPUTE_PGM_RSRC2:USER_SGPR: 2
; COMPUTE_PGM_RSRC2:TRAP_HANDLER: 0
; COMPUTE_PGM_RSRC2:TGID_X_EN: 1
; COMPUTE_PGM_RSRC2:TGID_Y_EN: 0
; COMPUTE_PGM_RSRC2:TGID_Z_EN: 0
; COMPUTE_PGM_RSRC2:TIDIG_COMP_CNT: 0
	.section	.text._ZN9rocsparseL39bsrgeam_wf_per_row_multipass_2_3_kernelILj256ELj3ELj64EfEEv20rocsparse_direction_iiiNS_24const_host_device_scalarIT2_EEPKiS6_PKS3_S4_S6_S6_S8_S6_PiPS3_21rocsparse_index_base_SB_SB_b,"axG",@progbits,_ZN9rocsparseL39bsrgeam_wf_per_row_multipass_2_3_kernelILj256ELj3ELj64EfEEv20rocsparse_direction_iiiNS_24const_host_device_scalarIT2_EEPKiS6_PKS3_S4_S6_S6_S8_S6_PiPS3_21rocsparse_index_base_SB_SB_b,comdat
	.globl	_ZN9rocsparseL39bsrgeam_wf_per_row_multipass_2_3_kernelILj256ELj3ELj64EfEEv20rocsparse_direction_iiiNS_24const_host_device_scalarIT2_EEPKiS6_PKS3_S4_S6_S6_S8_S6_PiPS3_21rocsparse_index_base_SB_SB_b ; -- Begin function _ZN9rocsparseL39bsrgeam_wf_per_row_multipass_2_3_kernelILj256ELj3ELj64EfEEv20rocsparse_direction_iiiNS_24const_host_device_scalarIT2_EEPKiS6_PKS3_S4_S6_S6_S8_S6_PiPS3_21rocsparse_index_base_SB_SB_b
	.p2align	8
	.type	_ZN9rocsparseL39bsrgeam_wf_per_row_multipass_2_3_kernelILj256ELj3ELj64EfEEv20rocsparse_direction_iiiNS_24const_host_device_scalarIT2_EEPKiS6_PKS3_S4_S6_S6_S8_S6_PiPS3_21rocsparse_index_base_SB_SB_b,@function
_ZN9rocsparseL39bsrgeam_wf_per_row_multipass_2_3_kernelILj256ELj3ELj64EfEEv20rocsparse_direction_iiiNS_24const_host_device_scalarIT2_EEPKiS6_PKS3_S4_S6_S6_S8_S6_PiPS3_21rocsparse_index_base_SB_SB_b: ; @_ZN9rocsparseL39bsrgeam_wf_per_row_multipass_2_3_kernelILj256ELj3ELj64EfEEv20rocsparse_direction_iiiNS_24const_host_device_scalarIT2_EEPKiS6_PKS3_S4_S6_S6_S8_S6_PiPS3_21rocsparse_index_base_SB_SB_b
; %bb.0:
	s_clause 0x2
	s_load_b128 s[4:7], s[0:1], 0x68
	s_load_b64 s[2:3], s[0:1], 0x10
	s_load_b64 s[24:25], s[0:1], 0x30
	s_wait_kmcnt 0x0
	s_bitcmp1_b32 s7, 0
	s_cselect_b32 s7, -1, 0
	s_delay_alu instid0(SALU_CYCLE_1)
	s_and_b32 vcc_lo, exec_lo, s7
	s_xor_b32 s7, s7, -1
	s_cbranch_vccnz .LBB3_2
; %bb.1:
	s_load_b32 s2, s[2:3], 0x0
.LBB3_2:
	s_and_not1_b32 vcc_lo, exec_lo, s7
	s_cbranch_vccnz .LBB3_4
; %bb.3:
	s_load_b32 s24, s[24:25], 0x0
.LBB3_4:
	s_nop 0
	s_load_b96 s[20:22], s[0:1], 0x0
	s_wait_xcnt 0x0
	s_bfe_u32 s3, ttmp6, 0x4000c
	s_and_b32 s7, ttmp6, 15
	s_add_co_i32 s3, s3, 1
	s_getreg_b32 s8, hwreg(HW_REG_IB_STS2, 6, 4)
	s_mul_i32 s3, ttmp9, s3
	v_lshrrev_b32_e32 v1, 6, v0
	s_add_co_i32 s7, s7, s3
	s_cmp_eq_u32 s8, 0
	s_cselect_b32 s3, ttmp9, s7
	s_delay_alu instid0(SALU_CYCLE_1) | instskip(NEXT) | instid1(SALU_CYCLE_1)
	s_lshl_b32 s3, s3, 2
	v_and_or_b32 v6, 0x3fffffc, s3, v1
	s_mov_b32 s3, exec_lo
	s_wait_kmcnt 0x0
	s_delay_alu instid0(VALU_DEP_1)
	v_cmpx_gt_i32_e64 s21, v6
	s_cbranch_execz .LBB3_39
; %bb.5:
	s_clause 0x2
	s_load_b128 s[8:11], s[0:1], 0x18
	s_load_b128 s[12:15], s[0:1], 0x38
	s_load_b64 s[16:17], s[0:1], 0x50
	v_lshlrev_b32_e32 v8, 2, v6
	s_wait_kmcnt 0x0
	s_clause 0x1
	global_load_b64 v[2:3], v8, s[8:9]
	global_load_b64 v[4:5], v8, s[12:13]
	global_load_b32 v7, v6, s[16:17] scale_offset
	s_wait_loadcnt 0x2
	s_wait_xcnt 0x0
	v_subrev_nc_u32_e32 v6, s4, v2
	v_cmp_lt_i32_e32 vcc_lo, v2, v3
	v_mov_b32_e32 v2, s22
	s_and_saveexec_b32 s3, vcc_lo
	s_cbranch_execz .LBB3_7
; %bb.6:
	global_load_b32 v2, v6, s[10:11] scale_offset
	s_wait_loadcnt 0x0
	v_subrev_nc_u32_e32 v2, s4, v2
.LBB3_7:
	s_or_b32 exec_lo, exec_lo, s3
	s_clause 0x2
	s_load_b128 s[16:19], s[0:1], 0x58
	s_load_b64 s[8:9], s[0:1], 0x28
	s_load_b64 s[12:13], s[0:1], 0x48
	s_wait_loadcnt 0x1
	v_subrev_nc_u32_e32 v14, s5, v4
	v_cmp_lt_i32_e32 vcc_lo, v4, v5
	v_mov_b32_e32 v4, s22
	s_wait_xcnt 0x0
	s_and_saveexec_b32 s0, vcc_lo
	s_cbranch_execz .LBB3_9
; %bb.8:
	global_load_b32 v4, v14, s[14:15] scale_offset
	s_wait_loadcnt 0x0
	v_subrev_nc_u32_e32 v4, s5, v4
.LBB3_9:
	s_or_b32 exec_lo, exec_lo, s0
	v_subrev_nc_u32_e32 v11, s5, v5
	v_mbcnt_lo_u32_b32 v5, -1, 0
	v_and_b32_e32 v22, 63, v0
	v_subrev_nc_u32_e32 v10, s4, v3
	v_mul_u32_u24_e32 v9, 0x900, v1
	v_min_i32_e32 v24, v4, v2
	v_xor_b32_e32 v4, 4, v5
	v_mul_u32_u24_e32 v3, 36, v22
	s_wait_loadcnt 0x0
	v_subrev_nc_u32_e32 v12, s6, v7
	v_xor_b32_e32 v7, 1, v5
	s_movk_i32 s0, 0xc0
	s_cmp_lg_u32 s20, 0
	v_mad_u32_u24 v15, 0x900, v1, v3
	v_or_b32_e32 v1, 32, v5
	v_and_or_b32 v8, v0, s0, 0x2400
	v_bitop3_b32 v0, v0, 63, v0 bitop3:0xc
	s_cselect_b32 s7, -1, 0
	s_cmp_eq_u32 s20, 0
	v_cmp_gt_i32_e32 vcc_lo, 32, v1
	s_mov_b32 s1, 0
	v_xor_b32_e32 v3, 16, v5
	s_cselect_b32 s20, 8, 24
	s_cselect_b32 s21, 12, 4
	v_dual_cndmask_b32 v2, v5, v1 :: v_dual_add_nc_u32 v13, v6, v22
	s_delay_alu instid0(VALU_DEP_2) | instskip(SKIP_2) | instid1(VALU_DEP_4)
	v_cmp_gt_i32_e32 vcc_lo, 32, v3
	v_xor_b32_e32 v6, 2, v5
	v_lshrrev_b64 v[0:1], v0, -1
	v_dual_lshlrev_b32 v16, 2, v2 :: v_dual_bitop2_b32 v2, 8, v5 bitop3:0x14
	v_dual_cndmask_b32 v3, v5, v3 :: v_dual_add_nc_u32 v14, v14, v22
	v_add_nc_u32_e32 v1, s6, v22
	s_cselect_b32 s6, 4, 12
	s_delay_alu instid0(VALU_DEP_3)
	v_cmp_gt_i32_e32 vcc_lo, 32, v2
	v_mov_b32_e32 v23, 1
	s_cselect_b32 s23, 20, 28
	s_cselect_b32 s26, 24, 8
	;; [unrolled: 1-line block ×3, first 2 shown]
	v_cndmask_b32_e32 v2, v5, v2, vcc_lo
	v_cmp_gt_i32_e32 vcc_lo, 32, v4
	v_dual_lshlrev_b32 v17, 2, v3 :: v_dual_mov_b32 v3, 0
	s_mov_b32 s3, s2
	s_delay_alu instid0(VALU_DEP_3)
	v_dual_lshlrev_b32 v18, 2, v2 :: v_dual_cndmask_b32 v4, v5, v4, vcc_lo
	v_cmp_gt_i32_e32 vcc_lo, 32, v6
	s_mov_b32 s25, s24
	v_add_nc_u32_e32 v22, v8, v22
	v_cndmask_b32_e32 v6, v5, v6, vcc_lo
	v_cmp_gt_i32_e32 vcc_lo, 32, v7
	s_delay_alu instid0(VALU_DEP_2) | instskip(SKIP_1) | instid1(VALU_DEP_1)
	v_dual_lshlrev_b32 v19, 2, v4 :: v_dual_lshlrev_b32 v20, 2, v6
	v_cndmask_b32_e32 v5, v5, v7, vcc_lo
	v_lshlrev_b32_e32 v21, 2, v5
	s_branch .LBB3_11
.LBB3_10:                               ;   in Loop: Header=BB3_11 Depth=1
	s_wait_xcnt 0x0
	s_or_b32 exec_lo, exec_lo, s28
	ds_bpermute_b32 v2, v16, v25
	s_bcnt1_i32_b32 s28, vcc_lo
	s_wait_dscnt 0x0
	v_dual_add_nc_u32 v12, s28, v12 :: v_dual_min_i32 v2, v2, v25
	ds_bpermute_b32 v4, v17, v2
	s_wait_dscnt 0x0
	v_min_i32_e32 v2, v4, v2
	ds_bpermute_b32 v4, v18, v2
	s_wait_dscnt 0x0
	v_min_i32_e32 v2, v4, v2
	;; [unrolled: 3-line block ×5, first 2 shown]
	s_delay_alu instid0(VALU_DEP_1) | instskip(SKIP_1) | instid1(SALU_CYCLE_1)
	v_cmp_le_i32_e64 s0, s22, v24
	s_or_b32 s1, s0, s1
	s_and_not1_b32 exec_lo, exec_lo, s1
	s_cbranch_execz .LBB3_39
.LBB3_11:                               ; =>This Loop Header: Depth=1
                                        ;     Child Loop BB3_14 Depth 2
                                        ;     Child Loop BB3_27 Depth 2
	v_mov_b32_e32 v25, s22
	s_mov_b32 s28, exec_lo
	ds_store_2addr_b32 v15, v3, v3 offset1:1
	ds_store_2addr_b32 v15, v3, v3 offset0:2 offset1:3
	ds_store_2addr_b32 v15, v3, v3 offset0:4 offset1:5
	;; [unrolled: 1-line block ×3, first 2 shown]
	ds_store_b8 v22, v3
	ds_store_b32 v15, v3 offset:32
	s_wait_dscnt 0x0
	v_cmpx_lt_i32_e64 v13, v10
	s_cbranch_execz .LBB3_24
; %bb.12:                               ;   in Loop: Header=BB3_11 Depth=1
	v_mad_u32 v6, v13, 9, 8
	v_mov_b32_e32 v25, s22
	s_mov_b32 s29, 0
	s_branch .LBB3_14
.LBB3_13:                               ;   in Loop: Header=BB3_14 Depth=2
	s_or_b32 exec_lo, exec_lo, s31
	s_delay_alu instid0(SALU_CYCLE_1) | instskip(NEXT) | instid1(SALU_CYCLE_1)
	s_and_b32 s0, exec_lo, s30
	s_or_b32 s29, s0, s29
	s_delay_alu instid0(SALU_CYCLE_1)
	s_and_not1_b32 exec_lo, exec_lo, s29
	s_cbranch_execz .LBB3_23
.LBB3_14:                               ;   Parent Loop BB3_11 Depth=1
                                        ; =>  This Inner Loop Header: Depth=2
	global_load_b32 v2, v13, s[10:11] scale_offset
	s_mov_b32 s30, exec_lo
	s_wait_loadcnt 0x0
	v_subrev_nc_u32_e32 v4, s4, v2
	s_delay_alu instid0(VALU_DEP_1) | instskip(NEXT) | instid1(VALU_DEP_1)
	v_sub_nc_u32_e32 v2, v4, v24
	v_cmp_gt_u32_e64 s0, 64, v2
	s_wait_xcnt 0x0
	v_cmpx_lt_u32_e32 63, v2
	s_xor_b32 s30, exec_lo, s30
; %bb.15:                               ;   in Loop: Header=BB3_14 Depth=2
	v_min_i32_e32 v25, v4, v25
                                        ; implicit-def: $vgpr2
; %bb.16:                               ;   in Loop: Header=BB3_14 Depth=2
	s_and_not1_saveexec_b32 s30, s30
	s_cbranch_execz .LBB3_21
; %bb.17:                               ;   in Loop: Header=BB3_14 Depth=2
	v_add_nc_u32_e32 v4, -8, v6
	v_mul_lo_u32 v30, v2, 36
	v_add_nc_u32_e32 v31, v8, v2
	v_dual_add_nc_u32 v2, -4, v6 :: v_dual_add_nc_u32 v26, -5, v6
	v_add_nc_u32_e32 v7, -2, v6
	s_wait_kmcnt 0x0
	global_load_b32 v29, v4, s[8:9] scale_offset
	v_dual_add_nc_u32 v28, -7, v6 :: v_dual_add_nc_u32 v27, -1, v6
	s_wait_xcnt 0x0
	v_lshl_add_u64 v[4:5], v[2:3], 2, s[8:9]
	s_mov_b32 s31, -1
	s_and_not1_b32 vcc_lo, exec_lo, s7
	v_add_nc_u32_e32 v2, v9, v30
	s_wait_loadcnt 0x0
	v_dual_add_nc_u32 v30, -6, v6 :: v_dual_mul_f32 v32, s2, v29
	v_add_nc_u32_e32 v29, -3, v6
	ds_store_b8 v31, v23
	ds_store_b32 v2, v32
	s_cbranch_vccnz .LBB3_19
; %bb.18:                               ;   in Loop: Header=BB3_14 Depth=2
	s_clause 0x7
	global_load_b32 v32, v26, s[8:9] scale_offset
	global_load_b32 v33, v7, s[8:9] scale_offset
	;; [unrolled: 1-line block ×7, first 2 shown]
	global_load_b32 v35, v[4:5], off
	v_mov_b64_e32 v[40:41], s[2:3]
	s_mov_b32 s31, 0
	s_wait_loadcnt 0x6
	s_delay_alu instid0(VALU_DEP_1)
	v_pk_mul_f32 v[32:33], v[40:41], v[32:33]
	s_wait_loadcnt 0x3
	v_pk_mul_f32 v[36:37], v[40:41], v[36:37]
	s_wait_loadcnt 0x1
	v_pk_mul_f32 v[38:39], v[40:41], v[38:39]
	s_wait_loadcnt 0x0
	v_pk_mul_f32 v[34:35], v[40:41], v[34:35]
	ds_store_2addr_b32 v2, v32, v33 offset0:1 offset1:2
	ds_store_2addr_b32 v2, v34, v35 offset0:3 offset1:4
	;; [unrolled: 1-line block ×4, first 2 shown]
.LBB3_19:                               ;   in Loop: Header=BB3_14 Depth=2
	s_and_not1_b32 vcc_lo, exec_lo, s31
	s_cbranch_vccnz .LBB3_21
; %bb.20:                               ;   in Loop: Header=BB3_14 Depth=2
	s_clause 0x7
	global_load_b32 v32, v28, s[8:9] scale_offset
	global_load_b32 v33, v30, s[8:9] scale_offset
	;; [unrolled: 1-line block ×7, first 2 shown]
	global_load_b32 v35, v[4:5], off
	s_wait_xcnt 0x0
	v_mov_b64_e32 v[4:5], s[2:3]
	s_wait_loadcnt 0x6
	s_delay_alu instid0(VALU_DEP_1)
	v_pk_mul_f32 v[26:27], v[4:5], v[32:33]
	s_wait_loadcnt 0x1
	v_pk_mul_f32 v[30:31], v[4:5], v[36:37]
	s_wait_loadcnt 0x0
	v_pk_mul_f32 v[28:29], v[4:5], v[34:35]
	v_pk_mul_f32 v[4:5], v[4:5], v[38:39]
	ds_store_2addr_b32 v2, v26, v27 offset0:1 offset1:2
	ds_store_2addr_b32 v2, v28, v29 offset0:3 offset1:4
	;; [unrolled: 1-line block ×4, first 2 shown]
.LBB3_21:                               ;   in Loop: Header=BB3_14 Depth=2
	s_wait_xcnt 0x0
	s_or_b32 exec_lo, exec_lo, s30
	s_mov_b32 s30, -1
	s_and_saveexec_b32 s31, s0
	s_cbranch_execz .LBB3_13
; %bb.22:                               ;   in Loop: Header=BB3_14 Depth=2
	v_add_nc_u32_e32 v13, 64, v13
	v_add_nc_u32_e32 v6, 0x240, v6
	s_delay_alu instid0(VALU_DEP_2)
	v_cmp_ge_i32_e32 vcc_lo, v13, v10
	s_or_not1_b32 s30, vcc_lo, exec_lo
	s_branch .LBB3_13
.LBB3_23:                               ;   in Loop: Header=BB3_11 Depth=1
	s_or_b32 exec_lo, exec_lo, s29
.LBB3_24:                               ;   in Loop: Header=BB3_11 Depth=1
	s_delay_alu instid0(SALU_CYCLE_1) | instskip(NEXT) | instid1(SALU_CYCLE_1)
	s_or_b32 exec_lo, exec_lo, s28
	s_mov_b32 s28, exec_lo
	s_wait_dscnt 0x0
	v_cmpx_lt_i32_e64 v14, v11
	s_cbranch_execz .LBB3_37
; %bb.25:                               ;   in Loop: Header=BB3_11 Depth=1
	v_mad_u32 v26, v14, 9, 8
	s_mov_b32 s29, 0
	s_branch .LBB3_27
.LBB3_26:                               ;   in Loop: Header=BB3_27 Depth=2
	s_or_b32 exec_lo, exec_lo, s31
	s_delay_alu instid0(SALU_CYCLE_1) | instskip(NEXT) | instid1(SALU_CYCLE_1)
	s_and_b32 s0, exec_lo, s30
	s_or_b32 s29, s0, s29
	s_delay_alu instid0(SALU_CYCLE_1)
	s_and_not1_b32 exec_lo, exec_lo, s29
	s_cbranch_execz .LBB3_36
.LBB3_27:                               ;   Parent Loop BB3_11 Depth=1
                                        ; =>  This Inner Loop Header: Depth=2
	global_load_b32 v2, v14, s[14:15] scale_offset
	s_mov_b32 s30, exec_lo
	s_wait_loadcnt 0x0
	v_subrev_nc_u32_e32 v4, s5, v2
	s_delay_alu instid0(VALU_DEP_1) | instskip(NEXT) | instid1(VALU_DEP_1)
	v_sub_nc_u32_e32 v2, v4, v24
	v_cmp_gt_u32_e64 s0, 64, v2
	s_wait_xcnt 0x0
	v_cmpx_lt_u32_e32 63, v2
	s_xor_b32 s30, exec_lo, s30
; %bb.28:                               ;   in Loop: Header=BB3_27 Depth=2
	v_min_i32_e32 v25, v4, v25
                                        ; implicit-def: $vgpr2
; %bb.29:                               ;   in Loop: Header=BB3_27 Depth=2
	s_and_not1_saveexec_b32 s30, s30
	s_cbranch_execz .LBB3_34
; %bb.30:                               ;   in Loop: Header=BB3_27 Depth=2
	v_dual_add_nc_u32 v4, -8, v26 :: v_dual_add_nc_u32 v30, -5, v26
	v_dual_add_nc_u32 v29, -2, v26 :: v_dual_add_nc_u32 v28, -7, v26
	v_add_nc_u32_e32 v31, -1, v26
	s_wait_kmcnt 0x0
	global_load_b32 v32, v4, s[12:13] scale_offset
	s_wait_xcnt 0x0
	v_mul_lo_u32 v4, v2, 36
	s_mov_b32 s31, -1
	s_and_not1_b32 vcc_lo, exec_lo, s7
	v_add_nc_u32_e32 v33, v8, v2
	v_add_nc_u32_e32 v2, -4, v26
	s_delay_alu instid0(VALU_DEP_1) | instskip(NEXT) | instid1(VALU_DEP_4)
	v_lshl_add_u64 v[6:7], v[2:3], 2, s[12:13]
	v_dual_add_nc_u32 v2, -6, v26 :: v_dual_add_nc_u32 v27, v9, v4
	ds_load_2addr_b32 v[4:5], v27 offset1:1
	s_wait_loadcnt_dscnt 0x0
	v_dual_fmac_f32 v4, s24, v32 :: v_dual_add_nc_u32 v32, -3, v26
	ds_store_b8 v33, v23
	ds_store_b32 v27, v4
	s_cbranch_vccnz .LBB3_32
; %bb.31:                               ;   in Loop: Header=BB3_27 Depth=2
	s_clause 0x7
	global_load_b32 v35, v[6:7], off
	global_load_b32 v36, v30, s[12:13] scale_offset
	global_load_b32 v37, v29, s[12:13] scale_offset
	;; [unrolled: 1-line block ×7, first 2 shown]
	ds_load_b32 v43, v27 offset:8
	ds_load_2addr_b32 v[44:45], v27 offset0:3 offset1:4
	ds_load_2addr_b32 v[46:47], v27 offset0:5 offset1:6
	;; [unrolled: 1-line block ×3, first 2 shown]
	v_mov_b64_e32 v[50:51], s[24:25]
	v_mov_b32_e32 v42, v5
	s_mov_b32 s31, 0
	s_wait_loadcnt_dscnt 0x503
	s_delay_alu instid0(VALU_DEP_1)
	v_pk_fma_f32 v[36:37], v[50:51], v[36:37], v[42:43]
	s_wait_loadcnt_dscnt 0x402
	v_pk_fma_f32 v[34:35], v[50:51], v[34:35], v[44:45]
	s_wait_loadcnt_dscnt 0x201
	;; [unrolled: 2-line block ×3, first 2 shown]
	v_pk_fma_f32 v[40:41], v[50:51], v[40:41], v[48:49]
	ds_store_2addr_b32 v27, v36, v37 offset0:1 offset1:2
	ds_store_2addr_b32 v27, v34, v35 offset0:3 offset1:4
	;; [unrolled: 1-line block ×4, first 2 shown]
.LBB3_32:                               ;   in Loop: Header=BB3_27 Depth=2
	s_and_not1_b32 vcc_lo, exec_lo, s31
	s_cbranch_vccnz .LBB3_34
; %bb.33:                               ;   in Loop: Header=BB3_27 Depth=2
	s_clause 0x7
	global_load_b32 v35, v[6:7], off
	global_load_b32 v36, v28, s[12:13] scale_offset
	global_load_b32 v37, v2, s[12:13] scale_offset
	;; [unrolled: 1-line block ×7, first 2 shown]
	s_wait_xcnt 0x7
	ds_load_b32 v7, v27 offset:8
	s_wait_xcnt 0x0
	ds_load_2addr_b32 v[28:29], v27 offset0:3 offset1:4
	ds_load_2addr_b32 v[30:31], v27 offset0:5 offset1:6
	;; [unrolled: 1-line block ×3, first 2 shown]
	v_mov_b32_e32 v6, v5
	v_mov_b64_e32 v[4:5], s[24:25]
	s_wait_loadcnt_dscnt 0x503
	s_delay_alu instid0(VALU_DEP_1)
	v_pk_fma_f32 v[6:7], v[4:5], v[36:37], v[6:7]
	s_wait_loadcnt_dscnt 0x402
	v_pk_fma_f32 v[28:29], v[4:5], v[34:35], v[28:29]
	s_wait_loadcnt_dscnt 0x1
	v_pk_fma_f32 v[30:31], v[4:5], v[38:39], v[30:31]
	s_wait_dscnt 0x0
	v_pk_fma_f32 v[4:5], v[4:5], v[40:41], v[32:33]
	ds_store_2addr_b32 v27, v6, v7 offset0:1 offset1:2
	ds_store_2addr_b32 v27, v28, v29 offset0:3 offset1:4
	;; [unrolled: 1-line block ×4, first 2 shown]
.LBB3_34:                               ;   in Loop: Header=BB3_27 Depth=2
	s_wait_xcnt 0x0
	s_or_b32 exec_lo, exec_lo, s30
	s_mov_b32 s30, -1
	s_and_saveexec_b32 s31, s0
	s_cbranch_execz .LBB3_26
; %bb.35:                               ;   in Loop: Header=BB3_27 Depth=2
	v_add_nc_u32_e32 v14, 64, v14
	v_add_nc_u32_e32 v26, 0x240, v26
	s_delay_alu instid0(VALU_DEP_2)
	v_cmp_ge_i32_e32 vcc_lo, v14, v11
	s_or_not1_b32 s30, vcc_lo, exec_lo
	s_branch .LBB3_26
.LBB3_36:                               ;   in Loop: Header=BB3_11 Depth=1
	s_or_b32 exec_lo, exec_lo, s29
.LBB3_37:                               ;   in Loop: Header=BB3_11 Depth=1
	s_delay_alu instid0(SALU_CYCLE_1)
	s_or_b32 exec_lo, exec_lo, s28
	s_wait_dscnt 0x0
	ds_load_u8 v2, v22
	s_mov_b32 s28, exec_lo
	s_wait_dscnt 0x0
	v_and_b32_e32 v4, 1, v2
	v_cmp_ne_u16_e32 vcc_lo, 0, v2
	s_delay_alu instid0(VALU_DEP_2)
	v_cmpx_eq_u32_e32 1, v4
	s_cbranch_execz .LBB3_10
; %bb.38:                               ;   in Loop: Header=BB3_11 Depth=1
	v_dual_add_nc_u32 v7, s6, v15 :: v_dual_bitop2_b32 v2, vcc_lo, v0 bitop3:0x40
	v_dual_add_nc_u32 v26, s21, v15 :: v_dual_add_nc_u32 v27, s23, v15
	v_dual_add_nc_u32 v6, v1, v24 :: v_dual_add_nc_u32 v24, s20, v15
	;; [unrolled: 1-line block ×3, first 2 shown]
	ds_load_2addr_b32 v[4:5], v15 offset1:4
	ds_load_b32 v7, v7
	ds_load_b32 v24, v24
	;; [unrolled: 1-line block ×6, first 2 shown]
	ds_load_b32 v31, v15 offset:32
	v_bcnt_u32_b32 v2, v2, 0
	s_delay_alu instid0(VALU_DEP_1) | instskip(NEXT) | instid1(VALU_DEP_1)
	v_add3_u32 v2, v12, v2, -1
	v_lshl_add_u32 v30, v2, 3, v2
	s_wait_kmcnt 0x0
	global_store_b32 v2, v6, s[16:17] scale_offset
	s_wait_xcnt 0x0
	v_dual_add_nc_u32 v2, 1, v30 :: v_dual_add_nc_u32 v6, 2, v30
	v_dual_add_nc_u32 v32, 3, v30 :: v_dual_add_nc_u32 v33, 4, v30
	;; [unrolled: 1-line block ×4, first 2 shown]
	s_wait_dscnt 0x7
	global_store_b32 v30, v4, s[18:19] scale_offset
	s_wait_dscnt 0x6
	global_store_b32 v2, v7, s[18:19] scale_offset
	;; [unrolled: 2-line block ×3, first 2 shown]
	s_wait_dscnt 0x4
	s_clause 0x1
	global_store_b32 v32, v26, s[18:19] scale_offset
	global_store_b32 v33, v5, s[18:19] scale_offset
	s_wait_dscnt 0x3
	global_store_b32 v34, v27, s[18:19] scale_offset
	s_wait_dscnt 0x2
	;; [unrolled: 2-line block ×4, first 2 shown]
	global_store_b32 v37, v31, s[18:19] scale_offset
	s_branch .LBB3_10
.LBB3_39:
	s_endpgm
	.section	.rodata,"a",@progbits
	.p2align	6, 0x0
	.amdhsa_kernel _ZN9rocsparseL39bsrgeam_wf_per_row_multipass_2_3_kernelILj256ELj3ELj64EfEEv20rocsparse_direction_iiiNS_24const_host_device_scalarIT2_EEPKiS6_PKS3_S4_S6_S6_S8_S6_PiPS3_21rocsparse_index_base_SB_SB_b
		.amdhsa_group_segment_fixed_size 9472
		.amdhsa_private_segment_fixed_size 0
		.amdhsa_kernarg_size 120
		.amdhsa_user_sgpr_count 2
		.amdhsa_user_sgpr_dispatch_ptr 0
		.amdhsa_user_sgpr_queue_ptr 0
		.amdhsa_user_sgpr_kernarg_segment_ptr 1
		.amdhsa_user_sgpr_dispatch_id 0
		.amdhsa_user_sgpr_kernarg_preload_length 0
		.amdhsa_user_sgpr_kernarg_preload_offset 0
		.amdhsa_user_sgpr_private_segment_size 0
		.amdhsa_wavefront_size32 1
		.amdhsa_uses_dynamic_stack 0
		.amdhsa_enable_private_segment 0
		.amdhsa_system_sgpr_workgroup_id_x 1
		.amdhsa_system_sgpr_workgroup_id_y 0
		.amdhsa_system_sgpr_workgroup_id_z 0
		.amdhsa_system_sgpr_workgroup_info 0
		.amdhsa_system_vgpr_workitem_id 0
		.amdhsa_next_free_vgpr 52
		.amdhsa_next_free_sgpr 32
		.amdhsa_named_barrier_count 0
		.amdhsa_reserve_vcc 1
		.amdhsa_float_round_mode_32 0
		.amdhsa_float_round_mode_16_64 0
		.amdhsa_float_denorm_mode_32 3
		.amdhsa_float_denorm_mode_16_64 3
		.amdhsa_fp16_overflow 0
		.amdhsa_memory_ordered 1
		.amdhsa_forward_progress 1
		.amdhsa_inst_pref_size 22
		.amdhsa_round_robin_scheduling 0
		.amdhsa_exception_fp_ieee_invalid_op 0
		.amdhsa_exception_fp_denorm_src 0
		.amdhsa_exception_fp_ieee_div_zero 0
		.amdhsa_exception_fp_ieee_overflow 0
		.amdhsa_exception_fp_ieee_underflow 0
		.amdhsa_exception_fp_ieee_inexact 0
		.amdhsa_exception_int_div_zero 0
	.end_amdhsa_kernel
	.section	.text._ZN9rocsparseL39bsrgeam_wf_per_row_multipass_2_3_kernelILj256ELj3ELj64EfEEv20rocsparse_direction_iiiNS_24const_host_device_scalarIT2_EEPKiS6_PKS3_S4_S6_S6_S8_S6_PiPS3_21rocsparse_index_base_SB_SB_b,"axG",@progbits,_ZN9rocsparseL39bsrgeam_wf_per_row_multipass_2_3_kernelILj256ELj3ELj64EfEEv20rocsparse_direction_iiiNS_24const_host_device_scalarIT2_EEPKiS6_PKS3_S4_S6_S6_S8_S6_PiPS3_21rocsparse_index_base_SB_SB_b,comdat
.Lfunc_end3:
	.size	_ZN9rocsparseL39bsrgeam_wf_per_row_multipass_2_3_kernelILj256ELj3ELj64EfEEv20rocsparse_direction_iiiNS_24const_host_device_scalarIT2_EEPKiS6_PKS3_S4_S6_S6_S8_S6_PiPS3_21rocsparse_index_base_SB_SB_b, .Lfunc_end3-_ZN9rocsparseL39bsrgeam_wf_per_row_multipass_2_3_kernelILj256ELj3ELj64EfEEv20rocsparse_direction_iiiNS_24const_host_device_scalarIT2_EEPKiS6_PKS3_S4_S6_S6_S8_S6_PiPS3_21rocsparse_index_base_SB_SB_b
                                        ; -- End function
	.set _ZN9rocsparseL39bsrgeam_wf_per_row_multipass_2_3_kernelILj256ELj3ELj64EfEEv20rocsparse_direction_iiiNS_24const_host_device_scalarIT2_EEPKiS6_PKS3_S4_S6_S6_S8_S6_PiPS3_21rocsparse_index_base_SB_SB_b.num_vgpr, 52
	.set _ZN9rocsparseL39bsrgeam_wf_per_row_multipass_2_3_kernelILj256ELj3ELj64EfEEv20rocsparse_direction_iiiNS_24const_host_device_scalarIT2_EEPKiS6_PKS3_S4_S6_S6_S8_S6_PiPS3_21rocsparse_index_base_SB_SB_b.num_agpr, 0
	.set _ZN9rocsparseL39bsrgeam_wf_per_row_multipass_2_3_kernelILj256ELj3ELj64EfEEv20rocsparse_direction_iiiNS_24const_host_device_scalarIT2_EEPKiS6_PKS3_S4_S6_S6_S8_S6_PiPS3_21rocsparse_index_base_SB_SB_b.numbered_sgpr, 32
	.set _ZN9rocsparseL39bsrgeam_wf_per_row_multipass_2_3_kernelILj256ELj3ELj64EfEEv20rocsparse_direction_iiiNS_24const_host_device_scalarIT2_EEPKiS6_PKS3_S4_S6_S6_S8_S6_PiPS3_21rocsparse_index_base_SB_SB_b.num_named_barrier, 0
	.set _ZN9rocsparseL39bsrgeam_wf_per_row_multipass_2_3_kernelILj256ELj3ELj64EfEEv20rocsparse_direction_iiiNS_24const_host_device_scalarIT2_EEPKiS6_PKS3_S4_S6_S6_S8_S6_PiPS3_21rocsparse_index_base_SB_SB_b.private_seg_size, 0
	.set _ZN9rocsparseL39bsrgeam_wf_per_row_multipass_2_3_kernelILj256ELj3ELj64EfEEv20rocsparse_direction_iiiNS_24const_host_device_scalarIT2_EEPKiS6_PKS3_S4_S6_S6_S8_S6_PiPS3_21rocsparse_index_base_SB_SB_b.uses_vcc, 1
	.set _ZN9rocsparseL39bsrgeam_wf_per_row_multipass_2_3_kernelILj256ELj3ELj64EfEEv20rocsparse_direction_iiiNS_24const_host_device_scalarIT2_EEPKiS6_PKS3_S4_S6_S6_S8_S6_PiPS3_21rocsparse_index_base_SB_SB_b.uses_flat_scratch, 0
	.set _ZN9rocsparseL39bsrgeam_wf_per_row_multipass_2_3_kernelILj256ELj3ELj64EfEEv20rocsparse_direction_iiiNS_24const_host_device_scalarIT2_EEPKiS6_PKS3_S4_S6_S6_S8_S6_PiPS3_21rocsparse_index_base_SB_SB_b.has_dyn_sized_stack, 0
	.set _ZN9rocsparseL39bsrgeam_wf_per_row_multipass_2_3_kernelILj256ELj3ELj64EfEEv20rocsparse_direction_iiiNS_24const_host_device_scalarIT2_EEPKiS6_PKS3_S4_S6_S6_S8_S6_PiPS3_21rocsparse_index_base_SB_SB_b.has_recursion, 0
	.set _ZN9rocsparseL39bsrgeam_wf_per_row_multipass_2_3_kernelILj256ELj3ELj64EfEEv20rocsparse_direction_iiiNS_24const_host_device_scalarIT2_EEPKiS6_PKS3_S4_S6_S6_S8_S6_PiPS3_21rocsparse_index_base_SB_SB_b.has_indirect_call, 0
	.section	.AMDGPU.csdata,"",@progbits
; Kernel info:
; codeLenInByte = 2772
; TotalNumSgprs: 34
; NumVgprs: 52
; ScratchSize: 0
; MemoryBound: 0
; FloatMode: 240
; IeeeMode: 1
; LDSByteSize: 9472 bytes/workgroup (compile time only)
; SGPRBlocks: 0
; VGPRBlocks: 3
; NumSGPRsForWavesPerEU: 34
; NumVGPRsForWavesPerEU: 52
; NamedBarCnt: 0
; Occupancy: 16
; WaveLimiterHint : 1
; COMPUTE_PGM_RSRC2:SCRATCH_EN: 0
; COMPUTE_PGM_RSRC2:USER_SGPR: 2
; COMPUTE_PGM_RSRC2:TRAP_HANDLER: 0
; COMPUTE_PGM_RSRC2:TGID_X_EN: 1
; COMPUTE_PGM_RSRC2:TGID_Y_EN: 0
; COMPUTE_PGM_RSRC2:TGID_Z_EN: 0
; COMPUTE_PGM_RSRC2:TIDIG_COMP_CNT: 0
	.section	.text._ZN9rocsparseL35bsrgeam_wf_per_row_multipass_kernelILj64ELj4EfEEv20rocsparse_direction_iiiNS_24const_host_device_scalarIT1_EEPKiS6_PKS3_S4_S6_S6_S8_S6_PiPS3_21rocsparse_index_base_SB_SB_b,"axG",@progbits,_ZN9rocsparseL35bsrgeam_wf_per_row_multipass_kernelILj64ELj4EfEEv20rocsparse_direction_iiiNS_24const_host_device_scalarIT1_EEPKiS6_PKS3_S4_S6_S6_S8_S6_PiPS3_21rocsparse_index_base_SB_SB_b,comdat
	.globl	_ZN9rocsparseL35bsrgeam_wf_per_row_multipass_kernelILj64ELj4EfEEv20rocsparse_direction_iiiNS_24const_host_device_scalarIT1_EEPKiS6_PKS3_S4_S6_S6_S8_S6_PiPS3_21rocsparse_index_base_SB_SB_b ; -- Begin function _ZN9rocsparseL35bsrgeam_wf_per_row_multipass_kernelILj64ELj4EfEEv20rocsparse_direction_iiiNS_24const_host_device_scalarIT1_EEPKiS6_PKS3_S4_S6_S6_S8_S6_PiPS3_21rocsparse_index_base_SB_SB_b
	.p2align	8
	.type	_ZN9rocsparseL35bsrgeam_wf_per_row_multipass_kernelILj64ELj4EfEEv20rocsparse_direction_iiiNS_24const_host_device_scalarIT1_EEPKiS6_PKS3_S4_S6_S6_S8_S6_PiPS3_21rocsparse_index_base_SB_SB_b,@function
_ZN9rocsparseL35bsrgeam_wf_per_row_multipass_kernelILj64ELj4EfEEv20rocsparse_direction_iiiNS_24const_host_device_scalarIT1_EEPKiS6_PKS3_S4_S6_S6_S8_S6_PiPS3_21rocsparse_index_base_SB_SB_b: ; @_ZN9rocsparseL35bsrgeam_wf_per_row_multipass_kernelILj64ELj4EfEEv20rocsparse_direction_iiiNS_24const_host_device_scalarIT1_EEPKiS6_PKS3_S4_S6_S6_S8_S6_PiPS3_21rocsparse_index_base_SB_SB_b
; %bb.0:
	s_clause 0x2
	s_load_b128 s[4:7], s[0:1], 0x68
	s_load_b64 s[16:17], s[0:1], 0x10
	s_load_b64 s[18:19], s[0:1], 0x30
	s_wait_kmcnt 0x0
	s_bitcmp1_b32 s7, 0
	s_cselect_b32 s2, -1, 0
	s_delay_alu instid0(SALU_CYCLE_1)
	s_and_b32 vcc_lo, exec_lo, s2
	s_xor_b32 s2, s2, -1
	s_cbranch_vccnz .LBB4_2
; %bb.1:
	s_load_b32 s16, s[16:17], 0x0
.LBB4_2:
	s_nop 0
	s_load_b64 s[12:13], s[0:1], 0x18
	s_and_not1_b32 vcc_lo, exec_lo, s2
	s_cbranch_vccnz .LBB4_4
; %bb.3:
	s_load_b32 s18, s[18:19], 0x0
.LBB4_4:
	s_nop 0
	s_load_b128 s[8:11], s[0:1], 0x0
	s_bfe_u32 s2, ttmp6, 0x4000c
	s_and_b32 s3, ttmp6, 15
	s_add_co_i32 s2, s2, 1
	s_getreg_b32 s7, hwreg(HW_REG_IB_STS2, 6, 4)
	s_mul_i32 s2, ttmp9, s2
	v_dual_mov_b32 v2, 0 :: v_dual_lshrrev_b32 v1, 4, v0
	s_add_co_i32 s3, s3, s2
	s_cmp_eq_u32 s7, 0
	v_mov_b32_e32 v4, 0
	s_cselect_b32 s2, ttmp9, s3
	s_delay_alu instid0(SALU_CYCLE_1) | instskip(SKIP_1) | instid1(VALU_DEP_1)
	v_lshl_or_b32 v3, s2, 2, v1
	s_wait_kmcnt 0x0
	v_cmp_gt_i32_e64 s2, s9, v3
	v_cmp_le_i32_e32 vcc_lo, s9, v3
	s_and_saveexec_b32 s3, s2
	s_cbranch_execz .LBB4_6
; %bb.5:
	global_load_b32 v4, v3, s[12:13] scale_offset
	s_wait_loadcnt 0x0
	v_subrev_nc_u32_e32 v4, s4, v4
.LBB4_6:
	s_or_b32 exec_lo, exec_lo, s3
	s_load_b64 s[14:15], s[0:1], 0x38
	v_mov_b32_e32 v6, 0
	s_and_saveexec_b32 s3, s2
	s_cbranch_execz .LBB4_8
; %bb.7:
	global_load_b32 v5, v3, s[12:13] offset:4 scale_offset
	s_wait_loadcnt 0x0
	v_subrev_nc_u32_e32 v6, s4, v5
.LBB4_8:
	s_or_b32 exec_lo, exec_lo, s3
	s_and_saveexec_b32 s3, s2
	s_cbranch_execz .LBB4_10
; %bb.9:
	s_wait_kmcnt 0x0
	global_load_b32 v2, v3, s[14:15] scale_offset
	s_wait_loadcnt 0x0
	v_subrev_nc_u32_e32 v2, s5, v2
.LBB4_10:
	s_or_b32 exec_lo, exec_lo, s3
	v_dual_mov_b32 v8, 0 :: v_dual_mov_b32 v7, 0
	s_and_saveexec_b32 s3, s2
	s_cbranch_execz .LBB4_12
; %bb.11:
	s_wait_kmcnt 0x0
	global_load_b32 v5, v3, s[14:15] offset:4 scale_offset
	s_wait_loadcnt 0x0
	v_subrev_nc_u32_e32 v7, s5, v5
.LBB4_12:
	s_or_b32 exec_lo, exec_lo, s3
	s_and_saveexec_b32 s3, s2
	s_cbranch_execz .LBB4_14
; %bb.13:
	s_load_b64 s[12:13], s[0:1], 0x50
	s_wait_kmcnt 0x0
	global_load_b32 v3, v3, s[12:13] scale_offset
	s_wait_loadcnt 0x0
	v_subrev_nc_u32_e32 v8, s6, v3
.LBB4_14:
	s_or_b32 exec_lo, exec_lo, s3
	s_load_b64 s[20:21], s[0:1], 0x20
	v_mov_b32_e32 v3, s10
	s_mov_b32 s3, exec_lo
	v_cmpx_lt_i32_e64 v4, v6
	s_cbranch_execz .LBB4_16
; %bb.15:
	s_wait_kmcnt 0x0
	global_load_b32 v3, v4, s[20:21] scale_offset
	s_wait_loadcnt 0x0
	v_subrev_nc_u32_e32 v3, s4, v3
.LBB4_16:
	s_or_b32 exec_lo, exec_lo, s3
	s_load_b64 s[22:23], s[0:1], 0x40
	v_mov_b32_e32 v5, s10
	s_mov_b32 s3, exec_lo
	v_cmpx_lt_i32_e64 v2, v7
	s_cbranch_execz .LBB4_18
; %bb.17:
	s_wait_kmcnt 0x0
	global_load_b32 v5, v2, s[22:23] scale_offset
	s_wait_loadcnt 0x0
	v_subrev_nc_u32_e32 v5, s5, v5
.LBB4_18:
	s_or_b32 exec_lo, exec_lo, s3
	v_cndmask_b32_e64 v11, 0, 1, vcc_lo
	v_dual_mov_b32 v9, 0 :: v_dual_lshlrev_b32 v10, 2, v1
	ds_store_b32 v10, v11 offset:256
	s_wait_dscnt 0x0
	s_barrier_signal -1
	s_barrier_wait -1
	ds_load_b32 v11, v9 offset:256
	s_wait_dscnt 0x0
	v_cmp_lt_u32_e32 vcc_lo, 3, v11
	s_cbranch_vccnz .LBB4_58
; %bb.19:
	s_wait_kmcnt 0x0
	s_clause 0x2
	s_load_b128 s[12:15], s[0:1], 0x58
	s_load_b64 s[24:25], s[0:1], 0x28
	s_load_b64 s[26:27], s[0:1], 0x48
	v_dual_lshlrev_b32 v14, 2, v0 :: v_dual_bitop2_b32 v11, 3, v0 bitop3:0x40
	v_bfe_u32 v12, v0, 2, 2
	v_min_i32_e32 v22, v5, v3
	s_delay_alu instid0(VALU_DEP_3) | instskip(SKIP_1) | instid1(VALU_DEP_4)
	v_dual_lshlrev_b32 v15, 2, v11 :: v_dual_bitop2_b32 v3, 48, v0 bitop3:0x40
	v_lshl_or_b32 v13, v1, 2, 0x110
	v_dual_lshlrev_b32 v5, 4, v12 :: v_dual_max_i32 v1, v12, v11
	s_delay_alu instid0(VALU_DEP_3) | instskip(SKIP_3) | instid1(VALU_DEP_3)
	v_lshlrev_b32_e32 v3, 2, v3
	v_dual_lshlrev_b32 v16, 4, v11 :: v_dual_lshlrev_b32 v17, 2, v12
	s_cmp_lg_u32 s8, 0
	v_or_b32_e32 v10, 0x100, v10
	v_or3_b32 v15, v3, v5, v15
	s_cselect_b32 s7, -1, 0
	v_or3_b32 v16, v3, v16, v17
	s_cmp_eq_u32 s8, 0
	s_wait_xcnt 0x0
	v_cmp_gt_i32_e64 s0, s11, v1
	s_cselect_b32 vcc_lo, -1, 0
	v_cmp_gt_u32_e64 s1, 2, v0
	v_or_b32_e32 v17, 0x100, v14
	v_cmp_eq_u32_e64 s2, 0, v0
	v_dual_cndmask_b32 v18, v12, v11 :: v_dual_cndmask_b32 v19, v11, v12
	v_dual_cndmask_b32 v20, v15, v16 :: v_dual_mov_b32 v21, 1
	s_mul_i32 s8, s11, s11
	s_branch .LBB4_21
.LBB4_20:                               ;   in Loop: Header=BB4_21 Depth=1
	s_or_b32 exec_lo, exec_lo, s3
	s_wait_dscnt 0x0
	s_barrier_signal -1
	s_barrier_wait -1
	ds_load_b32 v0, v9 offset:256
	v_dual_add_nc_u32 v8, 1, v8 :: v_dual_mov_b32 v22, v5
	s_wait_dscnt 0x0
	v_cmp_gt_u32_e32 vcc_lo, 4, v0
	s_cbranch_vccz .LBB4_58
.LBB4_21:                               ; =>This Loop Header: Depth=1
                                        ;     Child Loop BB4_24 Depth 2
                                        ;     Child Loop BB4_39 Depth 2
	v_mov_b32_e32 v5, s10
	s_mov_b32 s9, exec_lo
	ds_store_b32 v13, v9
	ds_store_b32 v14, v9
	s_wait_dscnt 0x0
	s_barrier_signal -1
	s_barrier_wait -1
	v_cmpx_lt_i32_e64 v4, v6
	s_cbranch_execz .LBB4_36
; %bb.22:                               ;   in Loop: Header=BB4_21 Depth=1
	v_mul_lo_u32 v0, s11, v4
	v_dual_mov_b32 v24, 0 :: v_dual_ashrrev_i32 v5, 31, v4
	s_mov_b32 s17, 0
	s_delay_alu instid0(VALU_DEP_2) | instskip(NEXT) | instid1(VALU_DEP_1)
	v_dual_add_nc_u32 v1, v11, v0 :: v_dual_add_nc_u32 v0, v12, v0
	v_mad_u32 v3, s11, v1, v12
	s_delay_alu instid0(VALU_DEP_2)
	v_mad_u32 v23, s11, v0, v11
	v_lshl_add_u64 v[0:1], v[4:5], 2, s[20:21]
	v_mov_b32_e32 v5, s10
	s_branch .LBB4_24
.LBB4_23:                               ;   in Loop: Header=BB4_24 Depth=2
	s_or_b32 exec_lo, exec_lo, s28
	v_dual_mov_b32 v26, v4 :: v_dual_mov_b32 v4, v25
	s_and_b32 s3, exec_lo, s19
	s_delay_alu instid0(SALU_CYCLE_1) | instskip(NEXT) | instid1(SALU_CYCLE_1)
	s_or_b32 s17, s3, s17
	s_and_not1_b32 exec_lo, exec_lo, s17
	s_cbranch_execz .LBB4_35
.LBB4_24:                               ;   Parent Loop BB4_21 Depth=1
                                        ; =>  This Inner Loop Header: Depth=2
	global_load_b32 v25, v[0:1], off
	s_wait_loadcnt 0x0
	v_subrev_nc_u32_e32 v25, s4, v25
	s_delay_alu instid0(VALU_DEP_1) | instskip(SKIP_2) | instid1(SALU_CYCLE_1)
	v_cmp_le_i32_e64 s3, v25, v22
	s_wait_xcnt 0x0
	s_and_saveexec_b32 s19, s3
	s_xor_b32 s19, exec_lo, s19
	s_cbranch_execz .LBB4_31
; %bb.25:                               ;   in Loop: Header=BB4_24 Depth=2
	ds_store_b32 v13, v21
	s_and_saveexec_b32 s28, s0
	s_cbranch_execz .LBB4_30
; %bb.26:                               ;   in Loop: Header=BB4_24 Depth=2
	s_and_b32 vcc_lo, exec_lo, s7
	s_mov_b32 s29, -1
	s_cbranch_vccz .LBB4_28
; %bb.27:                               ;   in Loop: Header=BB4_24 Depth=2
	v_add_nc_u32_e32 v25, v23, v24
	s_mov_b32 s29, 0
	s_wait_kmcnt 0x0
	global_load_b32 v25, v25, s[24:25] scale_offset
	s_wait_loadcnt 0x0
	s_wait_xcnt 0x0
	v_mul_f32_e32 v25, s16, v25
	ds_store_b32 v15, v25
.LBB4_28:                               ;   in Loop: Header=BB4_24 Depth=2
	s_and_not1_b32 vcc_lo, exec_lo, s29
	s_cbranch_vccnz .LBB4_30
; %bb.29:                               ;   in Loop: Header=BB4_24 Depth=2
	v_add_nc_u32_e32 v25, v3, v24
	s_wait_kmcnt 0x0
	global_load_b32 v25, v25, s[24:25] scale_offset
	s_wait_loadcnt 0x0
	v_mul_f32_e32 v25, s16, v25
	ds_store_b32 v16, v25
.LBB4_30:                               ;   in Loop: Header=BB4_24 Depth=2
	s_or_b32 exec_lo, exec_lo, s28
                                        ; implicit-def: $vgpr25
	s_and_not1_saveexec_b32 s19, s19
	s_branch .LBB4_32
.LBB4_31:                               ;   in Loop: Header=BB4_24 Depth=2
	s_and_not1_saveexec_b32 s19, s19
.LBB4_32:                               ;   in Loop: Header=BB4_24 Depth=2
	v_min_i32_e32 v5, v25, v5
; %bb.33:                               ;   in Loop: Header=BB4_24 Depth=2
	s_or_b32 exec_lo, exec_lo, s19
	s_mov_b32 s19, -1
                                        ; implicit-def: $vgpr25
	s_and_saveexec_b32 s28, s3
	s_cbranch_execz .LBB4_23
; %bb.34:                               ;   in Loop: Header=BB4_24 Depth=2
	v_dual_mov_b32 v4, v6 :: v_dual_add_nc_u32 v25, 1, v4
	v_add_nc_u64_e32 v[0:1], 4, v[0:1]
	v_add_nc_u32_e32 v24, s8, v24
	s_delay_alu instid0(VALU_DEP_3)
	v_cmp_ge_i32_e32 vcc_lo, v25, v6
	s_or_not1_b32 s19, vcc_lo, exec_lo
	s_branch .LBB4_23
.LBB4_35:                               ;   in Loop: Header=BB4_21 Depth=1
	s_or_b32 exec_lo, exec_lo, s17
	v_mov_b32_e32 v4, v26
.LBB4_36:                               ;   in Loop: Header=BB4_21 Depth=1
	s_or_b32 exec_lo, exec_lo, s9
	s_delay_alu instid0(SALU_CYCLE_1)
	s_mov_b32 s9, exec_lo
	s_wait_dscnt 0x0
	s_barrier_signal -1
	s_barrier_wait -1
	v_cmpx_lt_i32_e64 v2, v7
	s_cbranch_execz .LBB4_51
; %bb.37:                               ;   in Loop: Header=BB4_21 Depth=1
	v_mul_lo_u32 v0, s11, v2
	v_ashrrev_i32_e32 v3, 31, v2
	s_mov_b32 s17, 0
	s_delay_alu instid0(VALU_DEP_2) | instskip(NEXT) | instid1(VALU_DEP_1)
	v_dual_add_nc_u32 v1, v11, v0 :: v_dual_add_nc_u32 v0, v12, v0
	v_mad_u32 v23, s11, v1, v12
	s_delay_alu instid0(VALU_DEP_2)
	v_mad_u32 v24, s11, v0, v11
	v_lshl_add_u64 v[0:1], v[2:3], 2, s[22:23]
	v_mov_b32_e32 v3, 0
	s_branch .LBB4_39
.LBB4_38:                               ;   in Loop: Header=BB4_39 Depth=2
	s_or_b32 exec_lo, exec_lo, s28
	v_dual_mov_b32 v26, v2 :: v_dual_mov_b32 v2, v25
	s_and_b32 s3, exec_lo, s19
	s_delay_alu instid0(SALU_CYCLE_1) | instskip(NEXT) | instid1(SALU_CYCLE_1)
	s_or_b32 s17, s3, s17
	s_and_not1_b32 exec_lo, exec_lo, s17
	s_cbranch_execz .LBB4_50
.LBB4_39:                               ;   Parent Loop BB4_21 Depth=1
                                        ; =>  This Inner Loop Header: Depth=2
	global_load_b32 v25, v[0:1], off
	s_wait_loadcnt 0x0
	v_subrev_nc_u32_e32 v25, s5, v25
	s_delay_alu instid0(VALU_DEP_1) | instskip(SKIP_2) | instid1(SALU_CYCLE_1)
	v_cmp_le_i32_e64 s3, v25, v22
	s_wait_xcnt 0x0
	s_and_saveexec_b32 s19, s3
	s_xor_b32 s19, exec_lo, s19
	s_cbranch_execz .LBB4_46
; %bb.40:                               ;   in Loop: Header=BB4_39 Depth=2
	ds_store_b32 v13, v21
	s_and_saveexec_b32 s28, s0
	s_cbranch_execz .LBB4_45
; %bb.41:                               ;   in Loop: Header=BB4_39 Depth=2
	s_and_b32 vcc_lo, exec_lo, s7
	s_mov_b32 s29, -1
	s_cbranch_vccz .LBB4_43
; %bb.42:                               ;   in Loop: Header=BB4_39 Depth=2
	v_add_nc_u32_e32 v25, v24, v3
	ds_load_b32 v26, v15
	s_mov_b32 s29, 0
	s_wait_kmcnt 0x0
	global_load_b32 v25, v25, s[26:27] scale_offset
	s_wait_loadcnt_dscnt 0x0
	v_fmac_f32_e32 v26, s18, v25
	ds_store_b32 v15, v26
.LBB4_43:                               ;   in Loop: Header=BB4_39 Depth=2
	s_and_not1_b32 vcc_lo, exec_lo, s29
	s_cbranch_vccnz .LBB4_45
; %bb.44:                               ;   in Loop: Header=BB4_39 Depth=2
	s_wait_xcnt 0x0
	v_add_nc_u32_e32 v25, v23, v3
	ds_load_b32 v26, v16
	s_wait_kmcnt 0x0
	global_load_b32 v25, v25, s[26:27] scale_offset
	s_wait_loadcnt_dscnt 0x0
	v_fmac_f32_e32 v26, s18, v25
	ds_store_b32 v16, v26
.LBB4_45:                               ;   in Loop: Header=BB4_39 Depth=2
	s_wait_xcnt 0x0
	s_or_b32 exec_lo, exec_lo, s28
                                        ; implicit-def: $vgpr25
	s_and_not1_saveexec_b32 s19, s19
	s_branch .LBB4_47
.LBB4_46:                               ;   in Loop: Header=BB4_39 Depth=2
	s_and_not1_saveexec_b32 s19, s19
.LBB4_47:                               ;   in Loop: Header=BB4_39 Depth=2
	v_min_i32_e32 v5, v25, v5
; %bb.48:                               ;   in Loop: Header=BB4_39 Depth=2
	s_or_b32 exec_lo, exec_lo, s19
	s_mov_b32 s19, -1
                                        ; implicit-def: $vgpr25
	s_and_saveexec_b32 s28, s3
	s_cbranch_execz .LBB4_38
; %bb.49:                               ;   in Loop: Header=BB4_39 Depth=2
	v_dual_add_nc_u32 v25, 1, v2 :: v_dual_add_nc_u32 v3, s8, v3
	v_add_nc_u64_e32 v[0:1], 4, v[0:1]
	v_mov_b32_e32 v2, v7
	s_delay_alu instid0(VALU_DEP_3)
	v_cmp_ge_i32_e32 vcc_lo, v25, v7
	s_or_not1_b32 s19, vcc_lo, exec_lo
	s_branch .LBB4_38
.LBB4_50:                               ;   in Loop: Header=BB4_21 Depth=1
	s_or_b32 exec_lo, exec_lo, s17
	v_mov_b32_e32 v2, v26
.LBB4_51:                               ;   in Loop: Header=BB4_21 Depth=1
	s_or_b32 exec_lo, exec_lo, s9
	s_wait_dscnt 0x0
	s_barrier_signal -1
	s_barrier_wait -1
	ds_load_b32 v0, v13
	s_mov_b32 s3, exec_lo
	s_wait_dscnt 0x0
	v_cmpx_ne_u32_e32 0, v0
	s_cbranch_execz .LBB4_54
; %bb.52:                               ;   in Loop: Header=BB4_21 Depth=1
	v_add_nc_u32_e32 v0, s6, v22
	s_wait_kmcnt 0x0
	global_store_b32 v8, v0, s[12:13] scale_offset
	s_wait_xcnt 0x0
	s_and_b32 exec_lo, exec_lo, s0
	s_cbranch_execz .LBB4_54
; %bb.53:                               ;   in Loop: Header=BB4_21 Depth=1
	v_mad_u32 v0, v8, s11, v18
	ds_load_b32 v1, v20
	v_mad_u32 v0, v0, s11, v19
	s_wait_dscnt 0x0
	global_store_b32 v0, v1, s[14:15] scale_offset
.LBB4_54:                               ;   in Loop: Header=BB4_21 Depth=1
	s_wait_xcnt 0x0
	s_or_b32 exec_lo, exec_lo, s3
	v_cmp_le_i32_e32 vcc_lo, s10, v5
	s_wait_storecnt 0x0
	s_barrier_signal -1
	s_barrier_wait -1
	v_cndmask_b32_e64 v0, 0, 1, vcc_lo
	s_barrier_signal -1
	s_barrier_wait -1
	ds_store_b32 v10, v0
	s_wait_dscnt 0x0
	s_barrier_signal -1
	s_barrier_wait -1
	s_and_saveexec_b32 s3, s1
	s_cbranch_execz .LBB4_56
; %bb.55:                               ;   in Loop: Header=BB4_21 Depth=1
	ds_load_2addr_b32 v[0:1], v17 offset1:2
	s_wait_dscnt 0x0
	v_add_nc_u32_e32 v0, v1, v0
	ds_store_b32 v17, v0
.LBB4_56:                               ;   in Loop: Header=BB4_21 Depth=1
	s_or_b32 exec_lo, exec_lo, s3
	s_wait_dscnt 0x0
	s_barrier_signal -1
	s_barrier_wait -1
	s_and_saveexec_b32 s3, s2
	s_cbranch_execz .LBB4_20
; %bb.57:                               ;   in Loop: Header=BB4_21 Depth=1
	ds_load_b64 v[0:1], v9 offset:256
	s_wait_dscnt 0x0
	v_add_nc_u32_e32 v0, v1, v0
	ds_store_b32 v9, v0 offset:256
	s_branch .LBB4_20
.LBB4_58:
	s_endpgm
	.section	.rodata,"a",@progbits
	.p2align	6, 0x0
	.amdhsa_kernel _ZN9rocsparseL35bsrgeam_wf_per_row_multipass_kernelILj64ELj4EfEEv20rocsparse_direction_iiiNS_24const_host_device_scalarIT1_EEPKiS6_PKS3_S4_S6_S6_S8_S6_PiPS3_21rocsparse_index_base_SB_SB_b
		.amdhsa_group_segment_fixed_size 288
		.amdhsa_private_segment_fixed_size 0
		.amdhsa_kernarg_size 120
		.amdhsa_user_sgpr_count 2
		.amdhsa_user_sgpr_dispatch_ptr 0
		.amdhsa_user_sgpr_queue_ptr 0
		.amdhsa_user_sgpr_kernarg_segment_ptr 1
		.amdhsa_user_sgpr_dispatch_id 0
		.amdhsa_user_sgpr_kernarg_preload_length 0
		.amdhsa_user_sgpr_kernarg_preload_offset 0
		.amdhsa_user_sgpr_private_segment_size 0
		.amdhsa_wavefront_size32 1
		.amdhsa_uses_dynamic_stack 0
		.amdhsa_enable_private_segment 0
		.amdhsa_system_sgpr_workgroup_id_x 1
		.amdhsa_system_sgpr_workgroup_id_y 0
		.amdhsa_system_sgpr_workgroup_id_z 0
		.amdhsa_system_sgpr_workgroup_info 0
		.amdhsa_system_vgpr_workitem_id 0
		.amdhsa_next_free_vgpr 27
		.amdhsa_next_free_sgpr 30
		.amdhsa_named_barrier_count 0
		.amdhsa_reserve_vcc 1
		.amdhsa_float_round_mode_32 0
		.amdhsa_float_round_mode_16_64 0
		.amdhsa_float_denorm_mode_32 3
		.amdhsa_float_denorm_mode_16_64 3
		.amdhsa_fp16_overflow 0
		.amdhsa_memory_ordered 1
		.amdhsa_forward_progress 1
		.amdhsa_inst_pref_size 15
		.amdhsa_round_robin_scheduling 0
		.amdhsa_exception_fp_ieee_invalid_op 0
		.amdhsa_exception_fp_denorm_src 0
		.amdhsa_exception_fp_ieee_div_zero 0
		.amdhsa_exception_fp_ieee_overflow 0
		.amdhsa_exception_fp_ieee_underflow 0
		.amdhsa_exception_fp_ieee_inexact 0
		.amdhsa_exception_int_div_zero 0
	.end_amdhsa_kernel
	.section	.text._ZN9rocsparseL35bsrgeam_wf_per_row_multipass_kernelILj64ELj4EfEEv20rocsparse_direction_iiiNS_24const_host_device_scalarIT1_EEPKiS6_PKS3_S4_S6_S6_S8_S6_PiPS3_21rocsparse_index_base_SB_SB_b,"axG",@progbits,_ZN9rocsparseL35bsrgeam_wf_per_row_multipass_kernelILj64ELj4EfEEv20rocsparse_direction_iiiNS_24const_host_device_scalarIT1_EEPKiS6_PKS3_S4_S6_S6_S8_S6_PiPS3_21rocsparse_index_base_SB_SB_b,comdat
.Lfunc_end4:
	.size	_ZN9rocsparseL35bsrgeam_wf_per_row_multipass_kernelILj64ELj4EfEEv20rocsparse_direction_iiiNS_24const_host_device_scalarIT1_EEPKiS6_PKS3_S4_S6_S6_S8_S6_PiPS3_21rocsparse_index_base_SB_SB_b, .Lfunc_end4-_ZN9rocsparseL35bsrgeam_wf_per_row_multipass_kernelILj64ELj4EfEEv20rocsparse_direction_iiiNS_24const_host_device_scalarIT1_EEPKiS6_PKS3_S4_S6_S6_S8_S6_PiPS3_21rocsparse_index_base_SB_SB_b
                                        ; -- End function
	.set _ZN9rocsparseL35bsrgeam_wf_per_row_multipass_kernelILj64ELj4EfEEv20rocsparse_direction_iiiNS_24const_host_device_scalarIT1_EEPKiS6_PKS3_S4_S6_S6_S8_S6_PiPS3_21rocsparse_index_base_SB_SB_b.num_vgpr, 27
	.set _ZN9rocsparseL35bsrgeam_wf_per_row_multipass_kernelILj64ELj4EfEEv20rocsparse_direction_iiiNS_24const_host_device_scalarIT1_EEPKiS6_PKS3_S4_S6_S6_S8_S6_PiPS3_21rocsparse_index_base_SB_SB_b.num_agpr, 0
	.set _ZN9rocsparseL35bsrgeam_wf_per_row_multipass_kernelILj64ELj4EfEEv20rocsparse_direction_iiiNS_24const_host_device_scalarIT1_EEPKiS6_PKS3_S4_S6_S6_S8_S6_PiPS3_21rocsparse_index_base_SB_SB_b.numbered_sgpr, 30
	.set _ZN9rocsparseL35bsrgeam_wf_per_row_multipass_kernelILj64ELj4EfEEv20rocsparse_direction_iiiNS_24const_host_device_scalarIT1_EEPKiS6_PKS3_S4_S6_S6_S8_S6_PiPS3_21rocsparse_index_base_SB_SB_b.num_named_barrier, 0
	.set _ZN9rocsparseL35bsrgeam_wf_per_row_multipass_kernelILj64ELj4EfEEv20rocsparse_direction_iiiNS_24const_host_device_scalarIT1_EEPKiS6_PKS3_S4_S6_S6_S8_S6_PiPS3_21rocsparse_index_base_SB_SB_b.private_seg_size, 0
	.set _ZN9rocsparseL35bsrgeam_wf_per_row_multipass_kernelILj64ELj4EfEEv20rocsparse_direction_iiiNS_24const_host_device_scalarIT1_EEPKiS6_PKS3_S4_S6_S6_S8_S6_PiPS3_21rocsparse_index_base_SB_SB_b.uses_vcc, 1
	.set _ZN9rocsparseL35bsrgeam_wf_per_row_multipass_kernelILj64ELj4EfEEv20rocsparse_direction_iiiNS_24const_host_device_scalarIT1_EEPKiS6_PKS3_S4_S6_S6_S8_S6_PiPS3_21rocsparse_index_base_SB_SB_b.uses_flat_scratch, 0
	.set _ZN9rocsparseL35bsrgeam_wf_per_row_multipass_kernelILj64ELj4EfEEv20rocsparse_direction_iiiNS_24const_host_device_scalarIT1_EEPKiS6_PKS3_S4_S6_S6_S8_S6_PiPS3_21rocsparse_index_base_SB_SB_b.has_dyn_sized_stack, 0
	.set _ZN9rocsparseL35bsrgeam_wf_per_row_multipass_kernelILj64ELj4EfEEv20rocsparse_direction_iiiNS_24const_host_device_scalarIT1_EEPKiS6_PKS3_S4_S6_S6_S8_S6_PiPS3_21rocsparse_index_base_SB_SB_b.has_recursion, 0
	.set _ZN9rocsparseL35bsrgeam_wf_per_row_multipass_kernelILj64ELj4EfEEv20rocsparse_direction_iiiNS_24const_host_device_scalarIT1_EEPKiS6_PKS3_S4_S6_S6_S8_S6_PiPS3_21rocsparse_index_base_SB_SB_b.has_indirect_call, 0
	.section	.AMDGPU.csdata,"",@progbits
; Kernel info:
; codeLenInByte = 1872
; TotalNumSgprs: 32
; NumVgprs: 27
; ScratchSize: 0
; MemoryBound: 0
; FloatMode: 240
; IeeeMode: 1
; LDSByteSize: 288 bytes/workgroup (compile time only)
; SGPRBlocks: 0
; VGPRBlocks: 1
; NumSGPRsForWavesPerEU: 32
; NumVGPRsForWavesPerEU: 27
; NamedBarCnt: 0
; Occupancy: 16
; WaveLimiterHint : 0
; COMPUTE_PGM_RSRC2:SCRATCH_EN: 0
; COMPUTE_PGM_RSRC2:USER_SGPR: 2
; COMPUTE_PGM_RSRC2:TRAP_HANDLER: 0
; COMPUTE_PGM_RSRC2:TGID_X_EN: 1
; COMPUTE_PGM_RSRC2:TGID_Y_EN: 0
; COMPUTE_PGM_RSRC2:TGID_Z_EN: 0
; COMPUTE_PGM_RSRC2:TIDIG_COMP_CNT: 0
	.section	.text._ZN9rocsparseL35bsrgeam_wf_per_row_multipass_kernelILj64ELj8EfEEv20rocsparse_direction_iiiNS_24const_host_device_scalarIT1_EEPKiS6_PKS3_S4_S6_S6_S8_S6_PiPS3_21rocsparse_index_base_SB_SB_b,"axG",@progbits,_ZN9rocsparseL35bsrgeam_wf_per_row_multipass_kernelILj64ELj8EfEEv20rocsparse_direction_iiiNS_24const_host_device_scalarIT1_EEPKiS6_PKS3_S4_S6_S6_S8_S6_PiPS3_21rocsparse_index_base_SB_SB_b,comdat
	.globl	_ZN9rocsparseL35bsrgeam_wf_per_row_multipass_kernelILj64ELj8EfEEv20rocsparse_direction_iiiNS_24const_host_device_scalarIT1_EEPKiS6_PKS3_S4_S6_S6_S8_S6_PiPS3_21rocsparse_index_base_SB_SB_b ; -- Begin function _ZN9rocsparseL35bsrgeam_wf_per_row_multipass_kernelILj64ELj8EfEEv20rocsparse_direction_iiiNS_24const_host_device_scalarIT1_EEPKiS6_PKS3_S4_S6_S6_S8_S6_PiPS3_21rocsparse_index_base_SB_SB_b
	.p2align	8
	.type	_ZN9rocsparseL35bsrgeam_wf_per_row_multipass_kernelILj64ELj8EfEEv20rocsparse_direction_iiiNS_24const_host_device_scalarIT1_EEPKiS6_PKS3_S4_S6_S6_S8_S6_PiPS3_21rocsparse_index_base_SB_SB_b,@function
_ZN9rocsparseL35bsrgeam_wf_per_row_multipass_kernelILj64ELj8EfEEv20rocsparse_direction_iiiNS_24const_host_device_scalarIT1_EEPKiS6_PKS3_S4_S6_S6_S8_S6_PiPS3_21rocsparse_index_base_SB_SB_b: ; @_ZN9rocsparseL35bsrgeam_wf_per_row_multipass_kernelILj64ELj8EfEEv20rocsparse_direction_iiiNS_24const_host_device_scalarIT1_EEPKiS6_PKS3_S4_S6_S6_S8_S6_PiPS3_21rocsparse_index_base_SB_SB_b
; %bb.0:
	s_clause 0x2
	s_load_b128 s[4:7], s[0:1], 0x68
	s_load_b64 s[2:3], s[0:1], 0x10
	s_load_b64 s[16:17], s[0:1], 0x30
	s_wait_kmcnt 0x0
	s_bitcmp1_b32 s7, 0
	s_cselect_b32 s7, -1, 0
	s_delay_alu instid0(SALU_CYCLE_1)
	s_and_b32 vcc_lo, exec_lo, s7
	s_xor_b32 s7, s7, -1
	s_cbranch_vccnz .LBB5_2
; %bb.1:
	s_load_b32 s2, s[2:3], 0x0
.LBB5_2:
	s_nop 0
	s_load_b64 s[12:13], s[0:1], 0x18
	s_and_not1_b32 vcc_lo, exec_lo, s7
	s_cbranch_vccnz .LBB5_4
; %bb.3:
	s_load_b32 s16, s[16:17], 0x0
.LBB5_4:
	s_nop 0
	s_load_b128 s[8:11], s[0:1], 0x0
	s_wait_xcnt 0x0
	s_bfe_u32 s3, ttmp6, 0x4000c
	s_and_b32 s7, ttmp6, 15
	s_add_co_i32 s3, s3, 1
	s_getreg_b32 s14, hwreg(HW_REG_IB_STS2, 6, 4)
	s_mul_i32 s3, ttmp9, s3
	v_dual_mov_b32 v2, 0 :: v_dual_mov_b32 v4, 0
	s_add_co_i32 s7, s7, s3
	s_cmp_eq_u32 s14, 0
	s_cselect_b32 s7, ttmp9, s7
	s_delay_alu instid0(SALU_CYCLE_1)
	v_mov_b32_e32 v1, s7
	s_wait_kmcnt 0x0
	s_cmp_ge_i32 s7, s9
	s_cselect_b32 s3, -1, 0
	s_cmp_lt_i32 s7, s9
	s_cselect_b32 s7, -1, 0
	s_delay_alu instid0(SALU_CYCLE_1)
	s_and_saveexec_b32 s9, s7
	s_cbranch_execz .LBB5_6
; %bb.5:
	global_load_b32 v3, v1, s[12:13] scale_offset
	s_wait_loadcnt 0x0
	v_subrev_nc_u32_e32 v4, s4, v3
.LBB5_6:
	s_or_b32 exec_lo, exec_lo, s9
	s_load_b64 s[14:15], s[0:1], 0x38
	v_mov_b32_e32 v6, 0
	s_and_saveexec_b32 s9, s7
	s_cbranch_execz .LBB5_8
; %bb.7:
	global_load_b32 v3, v1, s[12:13] offset:4 scale_offset
	s_wait_loadcnt 0x0
	v_subrev_nc_u32_e32 v6, s4, v3
.LBB5_8:
	s_or_b32 exec_lo, exec_lo, s9
	s_and_saveexec_b32 s9, s7
	s_cbranch_execz .LBB5_10
; %bb.9:
	s_wait_kmcnt 0x0
	global_load_b32 v2, v1, s[14:15] scale_offset
	s_wait_loadcnt 0x0
	v_subrev_nc_u32_e32 v2, s5, v2
.LBB5_10:
	s_or_b32 exec_lo, exec_lo, s9
	v_dual_mov_b32 v8, 0 :: v_dual_mov_b32 v7, 0
	s_and_saveexec_b32 s9, s7
	s_cbranch_execz .LBB5_12
; %bb.11:
	s_wait_kmcnt 0x0
	global_load_b32 v3, v1, s[14:15] offset:4 scale_offset
	s_wait_loadcnt 0x0
	v_subrev_nc_u32_e32 v7, s5, v3
.LBB5_12:
	s_or_b32 exec_lo, exec_lo, s9
	s_and_saveexec_b32 s9, s7
	s_cbranch_execz .LBB5_14
; %bb.13:
	s_load_b64 s[12:13], s[0:1], 0x50
	s_wait_kmcnt 0x0
	global_load_b32 v1, v1, s[12:13] scale_offset
	s_wait_loadcnt 0x0
	v_subrev_nc_u32_e32 v8, s6, v1
.LBB5_14:
	s_or_b32 exec_lo, exec_lo, s9
	s_load_b64 s[18:19], s[0:1], 0x20
	v_mov_b32_e32 v1, s10
	s_mov_b32 s7, exec_lo
	v_cmpx_lt_i32_e64 v4, v6
	s_cbranch_execz .LBB5_16
; %bb.15:
	s_wait_kmcnt 0x0
	global_load_b32 v1, v4, s[18:19] scale_offset
	s_wait_loadcnt 0x0
	v_subrev_nc_u32_e32 v1, s4, v1
.LBB5_16:
	s_or_b32 exec_lo, exec_lo, s7
	s_load_b64 s[20:21], s[0:1], 0x40
	v_mov_b32_e32 v3, s10
	s_mov_b32 s7, exec_lo
	v_cmpx_lt_i32_e64 v2, v7
	s_cbranch_execz .LBB5_18
; %bb.17:
	s_wait_kmcnt 0x0
	global_load_b32 v3, v2, s[20:21] scale_offset
	s_wait_loadcnt 0x0
	v_subrev_nc_u32_e32 v3, s5, v3
.LBB5_18:
	s_or_b32 exec_lo, exec_lo, s7
	v_cndmask_b32_e64 v5, 0, 1, s3
	v_mov_b32_e32 v9, 0
	ds_store_b32 v9, v5 offset:256
	s_wait_dscnt 0x0
	s_barrier_signal -1
	s_barrier_wait -1
	ds_load_b32 v5, v9 offset:256
	s_wait_dscnt 0x0
	v_cmp_ne_u32_e32 vcc_lo, 0, v5
	s_cbranch_vccz .LBB5_20
.LBB5_19:
	s_endpgm
.LBB5_20:
	s_wait_kmcnt 0x0
	s_clause 0x2
	s_load_b128 s[12:15], s[0:1], 0x58
	s_load_b64 s[22:23], s[0:1], 0x28
	s_load_b64 s[24:25], s[0:1], 0x48
	v_dual_lshrrev_b32 v12, 3, v0 :: v_dual_bitop2_b32 v11, 7, v0 bitop3:0x40
	v_dual_mov_b32 v10, 0x100 :: v_dual_min_i32 v5, v3, v1
	v_dual_mov_b32 v13, 0x104 :: v_dual_lshlrev_b32 v14, 2, v0
	s_delay_alu instid0(VALU_DEP_3)
	v_dual_lshlrev_b32 v0, 2, v11 :: v_dual_lshlrev_b32 v1, 2, v12
	s_cmp_lg_u32 s8, 0
	v_mov_b32_e32 v20, 1
	s_cselect_b32 s3, -1, 0
	s_cmp_eq_u32 s8, 0
	v_lshl_or_b32 v15, v12, 5, v0
	v_lshl_or_b32 v16, v11, 5, v1
	s_cselect_b32 vcc_lo, -1, 0
	s_delay_alu instid0(SALU_CYCLE_1) | instskip(SKIP_1) | instid1(VALU_DEP_3)
	v_dual_cndmask_b32 v17, v12, v11, vcc_lo :: v_dual_max_i32 v3, v12, v11
	v_cndmask_b32_e32 v18, v11, v12, vcc_lo
	v_cndmask_b32_e32 v19, v15, v16, vcc_lo
	s_mul_i32 s7, s11, s11
	s_wait_xcnt 0x0
	v_cmp_gt_i32_e64 s0, s11, v3
	s_branch .LBB5_22
.LBB5_21:                               ;   in Loop: Header=BB5_22 Depth=1
	s_wait_xcnt 0x0
	s_or_b32 exec_lo, exec_lo, s1
	v_cmp_le_i32_e32 vcc_lo, s10, v5
	s_wait_storecnt 0x0
	s_barrier_signal -1
	s_barrier_wait -1
	v_cndmask_b32_e64 v0, 0, 1, vcc_lo
	s_barrier_signal -1
	s_barrier_wait -1
	ds_store_b32 v10, v0
	s_wait_dscnt 0x0
	s_barrier_signal -1
	s_barrier_wait -1
	ds_load_b32 v0, v9 offset:256
	v_add_nc_u32_e32 v8, 1, v8
	s_wait_dscnt 0x0
	v_cmp_eq_u32_e32 vcc_lo, 0, v0
	s_cbranch_vccz .LBB5_19
.LBB5_22:                               ; =>This Loop Header: Depth=1
                                        ;     Child Loop BB5_25 Depth 2
                                        ;     Child Loop BB5_40 Depth 2
	v_dual_mov_b32 v21, v5 :: v_dual_mov_b32 v5, s10
	s_mov_b32 s8, exec_lo
	ds_store_b32 v13, v9
	ds_store_b32 v14, v9
	s_wait_dscnt 0x0
	s_barrier_signal -1
	s_barrier_wait -1
	v_cmpx_lt_i32_e64 v4, v6
	s_cbranch_execz .LBB5_37
; %bb.23:                               ;   in Loop: Header=BB5_22 Depth=1
	v_mul_lo_u32 v0, s11, v4
	v_dual_ashrrev_i32 v5, 31, v4 :: v_dual_mov_b32 v23, 0
	s_mov_b32 s9, 0
	s_delay_alu instid0(VALU_DEP_2) | instskip(NEXT) | instid1(VALU_DEP_1)
	v_dual_add_nc_u32 v1, v11, v0 :: v_dual_add_nc_u32 v0, v12, v0
	v_mad_u32 v3, s11, v1, v12
	s_delay_alu instid0(VALU_DEP_2)
	v_mad_u32 v22, s11, v0, v11
	v_lshl_add_u64 v[0:1], v[4:5], 2, s[18:19]
	v_mov_b32_e32 v5, s10
	s_branch .LBB5_25
.LBB5_24:                               ;   in Loop: Header=BB5_25 Depth=2
	s_or_b32 exec_lo, exec_lo, s26
	v_dual_mov_b32 v25, v4 :: v_dual_mov_b32 v4, v24
	s_and_b32 s1, exec_lo, s17
	s_delay_alu instid0(SALU_CYCLE_1) | instskip(NEXT) | instid1(SALU_CYCLE_1)
	s_or_b32 s9, s1, s9
	s_and_not1_b32 exec_lo, exec_lo, s9
	s_cbranch_execz .LBB5_36
.LBB5_25:                               ;   Parent Loop BB5_22 Depth=1
                                        ; =>  This Inner Loop Header: Depth=2
	global_load_b32 v24, v[0:1], off
	s_wait_loadcnt 0x0
	v_subrev_nc_u32_e32 v24, s4, v24
	s_delay_alu instid0(VALU_DEP_1) | instskip(SKIP_2) | instid1(SALU_CYCLE_1)
	v_cmp_le_i32_e64 s1, v24, v21
	s_wait_xcnt 0x0
	s_and_saveexec_b32 s17, s1
	s_xor_b32 s17, exec_lo, s17
	s_cbranch_execz .LBB5_32
; %bb.26:                               ;   in Loop: Header=BB5_25 Depth=2
	ds_store_b32 v13, v20
	s_and_saveexec_b32 s26, s0
	s_cbranch_execz .LBB5_31
; %bb.27:                               ;   in Loop: Header=BB5_25 Depth=2
	s_and_b32 vcc_lo, exec_lo, s3
	s_mov_b32 s27, -1
	s_cbranch_vccz .LBB5_29
; %bb.28:                               ;   in Loop: Header=BB5_25 Depth=2
	v_add_nc_u32_e32 v24, v22, v23
	s_mov_b32 s27, 0
	s_wait_kmcnt 0x0
	global_load_b32 v24, v24, s[22:23] scale_offset
	s_wait_loadcnt 0x0
	s_wait_xcnt 0x0
	v_mul_f32_e32 v24, s2, v24
	ds_store_b32 v15, v24
.LBB5_29:                               ;   in Loop: Header=BB5_25 Depth=2
	s_and_not1_b32 vcc_lo, exec_lo, s27
	s_cbranch_vccnz .LBB5_31
; %bb.30:                               ;   in Loop: Header=BB5_25 Depth=2
	v_add_nc_u32_e32 v24, v3, v23
	s_wait_kmcnt 0x0
	global_load_b32 v24, v24, s[22:23] scale_offset
	s_wait_loadcnt 0x0
	v_mul_f32_e32 v24, s2, v24
	ds_store_b32 v16, v24
.LBB5_31:                               ;   in Loop: Header=BB5_25 Depth=2
	s_or_b32 exec_lo, exec_lo, s26
                                        ; implicit-def: $vgpr24
	s_and_not1_saveexec_b32 s17, s17
	s_branch .LBB5_33
.LBB5_32:                               ;   in Loop: Header=BB5_25 Depth=2
	s_and_not1_saveexec_b32 s17, s17
.LBB5_33:                               ;   in Loop: Header=BB5_25 Depth=2
	v_min_i32_e32 v5, v24, v5
; %bb.34:                               ;   in Loop: Header=BB5_25 Depth=2
	s_or_b32 exec_lo, exec_lo, s17
	s_mov_b32 s17, -1
                                        ; implicit-def: $vgpr24
	s_and_saveexec_b32 s26, s1
	s_cbranch_execz .LBB5_24
; %bb.35:                               ;   in Loop: Header=BB5_25 Depth=2
	v_dual_add_nc_u32 v24, 1, v4 :: v_dual_add_nc_u32 v23, s7, v23
	v_add_nc_u64_e32 v[0:1], 4, v[0:1]
	v_mov_b32_e32 v4, v6
	s_delay_alu instid0(VALU_DEP_3)
	v_cmp_ge_i32_e32 vcc_lo, v24, v6
	s_or_not1_b32 s17, vcc_lo, exec_lo
	s_branch .LBB5_24
.LBB5_36:                               ;   in Loop: Header=BB5_22 Depth=1
	s_or_b32 exec_lo, exec_lo, s9
	v_mov_b32_e32 v4, v25
.LBB5_37:                               ;   in Loop: Header=BB5_22 Depth=1
	s_or_b32 exec_lo, exec_lo, s8
	s_delay_alu instid0(SALU_CYCLE_1)
	s_mov_b32 s8, exec_lo
	s_wait_dscnt 0x0
	s_barrier_signal -1
	s_barrier_wait -1
	v_cmpx_lt_i32_e64 v2, v7
	s_cbranch_execz .LBB5_52
; %bb.38:                               ;   in Loop: Header=BB5_22 Depth=1
	v_mul_lo_u32 v0, s11, v2
	v_ashrrev_i32_e32 v3, 31, v2
	s_mov_b32 s9, 0
	s_delay_alu instid0(VALU_DEP_2) | instskip(NEXT) | instid1(VALU_DEP_1)
	v_dual_add_nc_u32 v1, v11, v0 :: v_dual_add_nc_u32 v0, v12, v0
	v_mad_u32 v22, s11, v1, v12
	s_delay_alu instid0(VALU_DEP_2)
	v_mad_u32 v23, s11, v0, v11
	v_lshl_add_u64 v[0:1], v[2:3], 2, s[20:21]
	v_mov_b32_e32 v3, 0
	s_branch .LBB5_40
.LBB5_39:                               ;   in Loop: Header=BB5_40 Depth=2
	s_or_b32 exec_lo, exec_lo, s26
	v_dual_mov_b32 v25, v2 :: v_dual_mov_b32 v2, v24
	s_and_b32 s1, exec_lo, s17
	s_delay_alu instid0(SALU_CYCLE_1) | instskip(NEXT) | instid1(SALU_CYCLE_1)
	s_or_b32 s9, s1, s9
	s_and_not1_b32 exec_lo, exec_lo, s9
	s_cbranch_execz .LBB5_51
.LBB5_40:                               ;   Parent Loop BB5_22 Depth=1
                                        ; =>  This Inner Loop Header: Depth=2
	global_load_b32 v24, v[0:1], off
	s_wait_loadcnt 0x0
	v_subrev_nc_u32_e32 v24, s5, v24
	s_delay_alu instid0(VALU_DEP_1) | instskip(SKIP_2) | instid1(SALU_CYCLE_1)
	v_cmp_le_i32_e64 s1, v24, v21
	s_wait_xcnt 0x0
	s_and_saveexec_b32 s17, s1
	s_xor_b32 s17, exec_lo, s17
	s_cbranch_execz .LBB5_47
; %bb.41:                               ;   in Loop: Header=BB5_40 Depth=2
	ds_store_b32 v13, v20
	s_and_saveexec_b32 s26, s0
	s_cbranch_execz .LBB5_46
; %bb.42:                               ;   in Loop: Header=BB5_40 Depth=2
	s_and_b32 vcc_lo, exec_lo, s3
	s_mov_b32 s27, -1
	s_cbranch_vccz .LBB5_44
; %bb.43:                               ;   in Loop: Header=BB5_40 Depth=2
	v_add_nc_u32_e32 v24, v23, v3
	ds_load_b32 v25, v15
	s_mov_b32 s27, 0
	s_wait_kmcnt 0x0
	global_load_b32 v24, v24, s[24:25] scale_offset
	s_wait_loadcnt_dscnt 0x0
	v_fmac_f32_e32 v25, s16, v24
	ds_store_b32 v15, v25
.LBB5_44:                               ;   in Loop: Header=BB5_40 Depth=2
	s_and_not1_b32 vcc_lo, exec_lo, s27
	s_cbranch_vccnz .LBB5_46
; %bb.45:                               ;   in Loop: Header=BB5_40 Depth=2
	s_wait_xcnt 0x0
	v_add_nc_u32_e32 v24, v22, v3
	ds_load_b32 v25, v16
	s_wait_kmcnt 0x0
	global_load_b32 v24, v24, s[24:25] scale_offset
	s_wait_loadcnt_dscnt 0x0
	v_fmac_f32_e32 v25, s16, v24
	ds_store_b32 v16, v25
.LBB5_46:                               ;   in Loop: Header=BB5_40 Depth=2
	s_wait_xcnt 0x0
	s_or_b32 exec_lo, exec_lo, s26
                                        ; implicit-def: $vgpr24
	s_and_not1_saveexec_b32 s17, s17
	s_branch .LBB5_48
.LBB5_47:                               ;   in Loop: Header=BB5_40 Depth=2
	s_and_not1_saveexec_b32 s17, s17
.LBB5_48:                               ;   in Loop: Header=BB5_40 Depth=2
	v_min_i32_e32 v5, v24, v5
; %bb.49:                               ;   in Loop: Header=BB5_40 Depth=2
	s_or_b32 exec_lo, exec_lo, s17
	s_mov_b32 s17, -1
                                        ; implicit-def: $vgpr24
	s_and_saveexec_b32 s26, s1
	s_cbranch_execz .LBB5_39
; %bb.50:                               ;   in Loop: Header=BB5_40 Depth=2
	v_dual_add_nc_u32 v24, 1, v2 :: v_dual_add_nc_u32 v3, s7, v3
	v_add_nc_u64_e32 v[0:1], 4, v[0:1]
	v_mov_b32_e32 v2, v7
	s_delay_alu instid0(VALU_DEP_3)
	v_cmp_ge_i32_e32 vcc_lo, v24, v7
	s_or_not1_b32 s17, vcc_lo, exec_lo
	s_branch .LBB5_39
.LBB5_51:                               ;   in Loop: Header=BB5_22 Depth=1
	s_or_b32 exec_lo, exec_lo, s9
	v_mov_b32_e32 v2, v25
.LBB5_52:                               ;   in Loop: Header=BB5_22 Depth=1
	s_or_b32 exec_lo, exec_lo, s8
	s_wait_dscnt 0x0
	s_barrier_signal -1
	s_barrier_wait -1
	ds_load_b32 v0, v13
	s_mov_b32 s1, exec_lo
	s_wait_dscnt 0x0
	v_cmpx_ne_u32_e32 0, v0
	s_cbranch_execz .LBB5_21
; %bb.53:                               ;   in Loop: Header=BB5_22 Depth=1
	v_add_nc_u32_e32 v0, s6, v21
	s_wait_kmcnt 0x0
	global_store_b32 v8, v0, s[12:13] scale_offset
	s_wait_xcnt 0x0
	s_and_b32 exec_lo, exec_lo, s0
	s_cbranch_execz .LBB5_21
; %bb.54:                               ;   in Loop: Header=BB5_22 Depth=1
	v_mad_u32 v0, v8, s11, v17
	ds_load_b32 v1, v19
	v_mad_u32 v0, v0, s11, v18
	s_wait_dscnt 0x0
	global_store_b32 v0, v1, s[14:15] scale_offset
	s_branch .LBB5_21
	.section	.rodata,"a",@progbits
	.p2align	6, 0x0
	.amdhsa_kernel _ZN9rocsparseL35bsrgeam_wf_per_row_multipass_kernelILj64ELj8EfEEv20rocsparse_direction_iiiNS_24const_host_device_scalarIT1_EEPKiS6_PKS3_S4_S6_S6_S8_S6_PiPS3_21rocsparse_index_base_SB_SB_b
		.amdhsa_group_segment_fixed_size 264
		.amdhsa_private_segment_fixed_size 0
		.amdhsa_kernarg_size 120
		.amdhsa_user_sgpr_count 2
		.amdhsa_user_sgpr_dispatch_ptr 0
		.amdhsa_user_sgpr_queue_ptr 0
		.amdhsa_user_sgpr_kernarg_segment_ptr 1
		.amdhsa_user_sgpr_dispatch_id 0
		.amdhsa_user_sgpr_kernarg_preload_length 0
		.amdhsa_user_sgpr_kernarg_preload_offset 0
		.amdhsa_user_sgpr_private_segment_size 0
		.amdhsa_wavefront_size32 1
		.amdhsa_uses_dynamic_stack 0
		.amdhsa_enable_private_segment 0
		.amdhsa_system_sgpr_workgroup_id_x 1
		.amdhsa_system_sgpr_workgroup_id_y 0
		.amdhsa_system_sgpr_workgroup_id_z 0
		.amdhsa_system_sgpr_workgroup_info 0
		.amdhsa_system_vgpr_workitem_id 0
		.amdhsa_next_free_vgpr 26
		.amdhsa_next_free_sgpr 28
		.amdhsa_named_barrier_count 0
		.amdhsa_reserve_vcc 1
		.amdhsa_float_round_mode_32 0
		.amdhsa_float_round_mode_16_64 0
		.amdhsa_float_denorm_mode_32 3
		.amdhsa_float_denorm_mode_16_64 3
		.amdhsa_fp16_overflow 0
		.amdhsa_memory_ordered 1
		.amdhsa_forward_progress 1
		.amdhsa_inst_pref_size 14
		.amdhsa_round_robin_scheduling 0
		.amdhsa_exception_fp_ieee_invalid_op 0
		.amdhsa_exception_fp_denorm_src 0
		.amdhsa_exception_fp_ieee_div_zero 0
		.amdhsa_exception_fp_ieee_overflow 0
		.amdhsa_exception_fp_ieee_underflow 0
		.amdhsa_exception_fp_ieee_inexact 0
		.amdhsa_exception_int_div_zero 0
	.end_amdhsa_kernel
	.section	.text._ZN9rocsparseL35bsrgeam_wf_per_row_multipass_kernelILj64ELj8EfEEv20rocsparse_direction_iiiNS_24const_host_device_scalarIT1_EEPKiS6_PKS3_S4_S6_S6_S8_S6_PiPS3_21rocsparse_index_base_SB_SB_b,"axG",@progbits,_ZN9rocsparseL35bsrgeam_wf_per_row_multipass_kernelILj64ELj8EfEEv20rocsparse_direction_iiiNS_24const_host_device_scalarIT1_EEPKiS6_PKS3_S4_S6_S6_S8_S6_PiPS3_21rocsparse_index_base_SB_SB_b,comdat
.Lfunc_end5:
	.size	_ZN9rocsparseL35bsrgeam_wf_per_row_multipass_kernelILj64ELj8EfEEv20rocsparse_direction_iiiNS_24const_host_device_scalarIT1_EEPKiS6_PKS3_S4_S6_S6_S8_S6_PiPS3_21rocsparse_index_base_SB_SB_b, .Lfunc_end5-_ZN9rocsparseL35bsrgeam_wf_per_row_multipass_kernelILj64ELj8EfEEv20rocsparse_direction_iiiNS_24const_host_device_scalarIT1_EEPKiS6_PKS3_S4_S6_S6_S8_S6_PiPS3_21rocsparse_index_base_SB_SB_b
                                        ; -- End function
	.set _ZN9rocsparseL35bsrgeam_wf_per_row_multipass_kernelILj64ELj8EfEEv20rocsparse_direction_iiiNS_24const_host_device_scalarIT1_EEPKiS6_PKS3_S4_S6_S6_S8_S6_PiPS3_21rocsparse_index_base_SB_SB_b.num_vgpr, 26
	.set _ZN9rocsparseL35bsrgeam_wf_per_row_multipass_kernelILj64ELj8EfEEv20rocsparse_direction_iiiNS_24const_host_device_scalarIT1_EEPKiS6_PKS3_S4_S6_S6_S8_S6_PiPS3_21rocsparse_index_base_SB_SB_b.num_agpr, 0
	.set _ZN9rocsparseL35bsrgeam_wf_per_row_multipass_kernelILj64ELj8EfEEv20rocsparse_direction_iiiNS_24const_host_device_scalarIT1_EEPKiS6_PKS3_S4_S6_S6_S8_S6_PiPS3_21rocsparse_index_base_SB_SB_b.numbered_sgpr, 28
	.set _ZN9rocsparseL35bsrgeam_wf_per_row_multipass_kernelILj64ELj8EfEEv20rocsparse_direction_iiiNS_24const_host_device_scalarIT1_EEPKiS6_PKS3_S4_S6_S6_S8_S6_PiPS3_21rocsparse_index_base_SB_SB_b.num_named_barrier, 0
	.set _ZN9rocsparseL35bsrgeam_wf_per_row_multipass_kernelILj64ELj8EfEEv20rocsparse_direction_iiiNS_24const_host_device_scalarIT1_EEPKiS6_PKS3_S4_S6_S6_S8_S6_PiPS3_21rocsparse_index_base_SB_SB_b.private_seg_size, 0
	.set _ZN9rocsparseL35bsrgeam_wf_per_row_multipass_kernelILj64ELj8EfEEv20rocsparse_direction_iiiNS_24const_host_device_scalarIT1_EEPKiS6_PKS3_S4_S6_S6_S8_S6_PiPS3_21rocsparse_index_base_SB_SB_b.uses_vcc, 1
	.set _ZN9rocsparseL35bsrgeam_wf_per_row_multipass_kernelILj64ELj8EfEEv20rocsparse_direction_iiiNS_24const_host_device_scalarIT1_EEPKiS6_PKS3_S4_S6_S6_S8_S6_PiPS3_21rocsparse_index_base_SB_SB_b.uses_flat_scratch, 0
	.set _ZN9rocsparseL35bsrgeam_wf_per_row_multipass_kernelILj64ELj8EfEEv20rocsparse_direction_iiiNS_24const_host_device_scalarIT1_EEPKiS6_PKS3_S4_S6_S6_S8_S6_PiPS3_21rocsparse_index_base_SB_SB_b.has_dyn_sized_stack, 0
	.set _ZN9rocsparseL35bsrgeam_wf_per_row_multipass_kernelILj64ELj8EfEEv20rocsparse_direction_iiiNS_24const_host_device_scalarIT1_EEPKiS6_PKS3_S4_S6_S6_S8_S6_PiPS3_21rocsparse_index_base_SB_SB_b.has_recursion, 0
	.set _ZN9rocsparseL35bsrgeam_wf_per_row_multipass_kernelILj64ELj8EfEEv20rocsparse_direction_iiiNS_24const_host_device_scalarIT1_EEPKiS6_PKS3_S4_S6_S6_S8_S6_PiPS3_21rocsparse_index_base_SB_SB_b.has_indirect_call, 0
	.section	.AMDGPU.csdata,"",@progbits
; Kernel info:
; codeLenInByte = 1728
; TotalNumSgprs: 30
; NumVgprs: 26
; ScratchSize: 0
; MemoryBound: 0
; FloatMode: 240
; IeeeMode: 1
; LDSByteSize: 264 bytes/workgroup (compile time only)
; SGPRBlocks: 0
; VGPRBlocks: 1
; NumSGPRsForWavesPerEU: 30
; NumVGPRsForWavesPerEU: 26
; NamedBarCnt: 0
; Occupancy: 16
; WaveLimiterHint : 0
; COMPUTE_PGM_RSRC2:SCRATCH_EN: 0
; COMPUTE_PGM_RSRC2:USER_SGPR: 2
; COMPUTE_PGM_RSRC2:TRAP_HANDLER: 0
; COMPUTE_PGM_RSRC2:TGID_X_EN: 1
; COMPUTE_PGM_RSRC2:TGID_Y_EN: 0
; COMPUTE_PGM_RSRC2:TGID_Z_EN: 0
; COMPUTE_PGM_RSRC2:TIDIG_COMP_CNT: 0
	.section	.text._ZN9rocsparseL39bsrgeam_block_per_row_multipass_kernel2ILj256ELj16EfEEv20rocsparse_direction_iiiNS_24const_host_device_scalarIT1_EEPKiS6_PKS3_S4_S6_S6_S8_S6_PiPS3_21rocsparse_index_base_SB_SB_b,"axG",@progbits,_ZN9rocsparseL39bsrgeam_block_per_row_multipass_kernel2ILj256ELj16EfEEv20rocsparse_direction_iiiNS_24const_host_device_scalarIT1_EEPKiS6_PKS3_S4_S6_S6_S8_S6_PiPS3_21rocsparse_index_base_SB_SB_b,comdat
	.globl	_ZN9rocsparseL39bsrgeam_block_per_row_multipass_kernel2ILj256ELj16EfEEv20rocsparse_direction_iiiNS_24const_host_device_scalarIT1_EEPKiS6_PKS3_S4_S6_S6_S8_S6_PiPS3_21rocsparse_index_base_SB_SB_b ; -- Begin function _ZN9rocsparseL39bsrgeam_block_per_row_multipass_kernel2ILj256ELj16EfEEv20rocsparse_direction_iiiNS_24const_host_device_scalarIT1_EEPKiS6_PKS3_S4_S6_S6_S8_S6_PiPS3_21rocsparse_index_base_SB_SB_b
	.p2align	8
	.type	_ZN9rocsparseL39bsrgeam_block_per_row_multipass_kernel2ILj256ELj16EfEEv20rocsparse_direction_iiiNS_24const_host_device_scalarIT1_EEPKiS6_PKS3_S4_S6_S6_S8_S6_PiPS3_21rocsparse_index_base_SB_SB_b,@function
_ZN9rocsparseL39bsrgeam_block_per_row_multipass_kernel2ILj256ELj16EfEEv20rocsparse_direction_iiiNS_24const_host_device_scalarIT1_EEPKiS6_PKS3_S4_S6_S6_S8_S6_PiPS3_21rocsparse_index_base_SB_SB_b: ; @_ZN9rocsparseL39bsrgeam_block_per_row_multipass_kernel2ILj256ELj16EfEEv20rocsparse_direction_iiiNS_24const_host_device_scalarIT1_EEPKiS6_PKS3_S4_S6_S6_S8_S6_PiPS3_21rocsparse_index_base_SB_SB_b
; %bb.0:
	s_clause 0x2
	s_load_b128 s[4:7], s[0:1], 0x68
	s_load_b64 s[2:3], s[0:1], 0x10
	s_load_b64 s[16:17], s[0:1], 0x30
	s_wait_kmcnt 0x0
	s_bitcmp1_b32 s7, 0
	s_cselect_b32 s7, -1, 0
	s_delay_alu instid0(SALU_CYCLE_1)
	s_and_b32 vcc_lo, exec_lo, s7
	s_xor_b32 s7, s7, -1
	s_cbranch_vccnz .LBB6_2
; %bb.1:
	s_load_b32 s2, s[2:3], 0x0
.LBB6_2:
	s_clause 0x2
	s_load_b64 s[8:9], s[0:1], 0x50
	s_load_b64 s[12:13], s[0:1], 0x18
	;; [unrolled: 1-line block ×3, first 2 shown]
	s_and_not1_b32 vcc_lo, exec_lo, s7
	s_cbranch_vccnz .LBB6_4
; %bb.3:
	s_load_b32 s16, s[16:17], 0x0
.LBB6_4:
	s_wait_xcnt 0x0
	s_bfe_u32 s3, ttmp6, 0x4000c
	s_and_b32 s7, ttmp6, 15
	s_add_co_i32 s3, s3, 1
	s_getreg_b32 s14, hwreg(HW_REG_IB_STS2, 6, 4)
	s_mul_i32 s3, ttmp9, s3
	s_delay_alu instid0(SALU_CYCLE_1) | instskip(SKIP_2) | instid1(SALU_CYCLE_1)
	s_add_co_i32 s7, s7, s3
	s_cmp_eq_u32 s14, 0
	s_cselect_b32 s14, ttmp9, s7
	s_ashr_i32 s15, s14, 31
	s_delay_alu instid0(SALU_CYCLE_1)
	s_lshl_b64 s[14:15], s[14:15], 2
	s_wait_kmcnt 0x0
	s_add_nc_u64 s[12:13], s[12:13], s[14:15]
	s_add_nc_u64 s[10:11], s[10:11], s[14:15]
	s_load_b64 s[28:29], s[12:13], 0x0
	s_clause 0x1
	s_load_b64 s[18:19], s[0:1], 0x8
	s_load_b64 s[20:21], s[0:1], 0x20
	;; [unrolled: 1-line block ×3, first 2 shown]
	s_add_nc_u64 s[26:27], s[8:9], s[14:15]
	s_wait_kmcnt 0x0
	s_mov_b32 s17, s18
	s_sub_co_i32 s22, s28, s4
	s_cmp_ge_i32 s28, s29
	s_cbranch_scc1 .LBB6_6
; %bb.5:
	s_ashr_i32 s23, s22, 31
	s_delay_alu instid0(SALU_CYCLE_1) | instskip(NEXT) | instid1(SALU_CYCLE_1)
	s_lshl_b64 s[8:9], s[22:23], 2
	s_add_nc_u64 s[8:9], s[20:21], s[8:9]
	s_load_b32 s3, s[8:9], 0x0
	s_wait_kmcnt 0x0
	s_sub_co_i32 s17, s3, s4
.LBB6_6:
	s_clause 0x2
	s_load_b128 s[8:11], s[0:1], 0x58
	s_load_b64 s[24:25], s[0:1], 0x28
	s_load_b128 s[12:15], s[0:1], 0x40
	s_load_b32 s23, s[26:27], 0x0
	s_wait_xcnt 0x0
	s_sub_co_i32 s26, s30, s5
	s_cmp_ge_i32 s30, s31
	s_mov_b32 s27, s18
	s_cbranch_scc1 .LBB6_8
; %bb.7:
	s_ashr_i32 s27, s26, 31
	s_delay_alu instid0(SALU_CYCLE_1)
	s_lshl_b64 s[34:35], s[26:27], 2
	s_wait_kmcnt 0x0
	s_add_nc_u64 s[34:35], s[12:13], s[34:35]
	s_load_b32 s3, s[34:35], 0x0
	s_wait_kmcnt 0x0
	s_sub_co_i32 s27, s3, s5
.LBB6_8:
	s_load_b32 s1, s[0:1], 0x0
	v_dual_lshrrev_b32 v2, 4, v0 :: v_dual_bitop2_b32 v1, 15, v0 bitop3:0x40
	v_lshlrev_b32_e32 v0, 2, v0
	s_wait_kmcnt 0x0
	s_sub_co_i32 s23, s23, s6
	s_sub_co_i32 s3, s29, s4
	v_cmp_gt_u32_e32 vcc_lo, s19, v1
	v_lshlrev_b32_e32 v6, 2, v2
	v_cmp_gt_i32_e64 s0, s19, v2
	v_dual_lshlrev_b32 v7, 6, v1 :: v_dual_mov_b32 v3, 0
	s_sub_co_i32 s7, s31, s5
	s_min_i32 s30, s27, s17
	v_dual_mov_b32 v4, 1 :: v_dual_mov_b32 v5, s23
	s_and_b32 s17, vcc_lo, s0
	v_add_nc_u32_e32 v6, v6, v7
	s_mul_i32 s29, s19, s19
	s_cmp_lg_u32 s1, 0
	s_cselect_b32 s28, -1, 0
	s_branch .LBB6_11
.LBB6_9:                                ;   in Loop: Header=BB6_11 Depth=1
	s_wait_xcnt 0x0
	s_or_b32 exec_lo, exec_lo, s0
.LBB6_10:                               ;   in Loop: Header=BB6_11 Depth=1
	s_wait_storecnt 0x0
	s_barrier_signal -1
	s_barrier_wait -1
	ds_load_b32 v7, v3 offset:1024
	s_cmp_lt_i32 s27, s18
	s_mov_b32 s30, s27
	s_wait_dscnt 0x0
	s_barrier_signal -1
	s_barrier_wait -1
	v_add_nc_u32_e32 v5, v7, v5
	s_cbranch_scc0 .LBB6_49
.LBB6_11:                               ; =>This Loop Header: Depth=1
                                        ;     Child Loop BB6_13 Depth 2
                                        ;     Child Loop BB6_29 Depth 2
	s_cmp_ge_i32 s22, s3
	ds_store_b32 v3, v3 offset:1024
	ds_store_b32 v0, v3
	s_wait_dscnt 0x0
	s_barrier_signal -1
	s_barrier_wait -1
	s_cbranch_scc1 .LBB6_26
; %bb.12:                               ;   in Loop: Header=BB6_11 Depth=1
	s_wait_xcnt 0x0
	s_mul_i32 s0, s19, s22
	s_ashr_i32 s23, s22, 31
	v_dual_add_nc_u32 v7, s0, v2 :: v_dual_add_nc_u32 v8, s0, v1
	s_lshl_b64 s[0:1], s[22:23], 2
	s_mov_b32 s27, 0
	s_add_nc_u64 s[0:1], s[20:21], s[0:1]
	s_delay_alu instid0(VALU_DEP_1)
	v_mad_u32 v7, s19, v7, v1
	v_mad_u32 v8, s19, v8, v2
	s_mov_b32 s31, s18
.LBB6_13:                               ;   Parent Loop BB6_11 Depth=1
                                        ; =>  This Inner Loop Header: Depth=2
	s_load_b32 s23, s[0:1], 0x0
	s_mov_b32 s34, -1
	s_wait_kmcnt 0x0
	s_sub_co_i32 s35, s23, s4
                                        ; implicit-def: $sgpr23
	s_delay_alu instid0(SALU_CYCLE_1)
	s_cmp_eq_u32 s35, s30
	s_cselect_b32 s33, -1, 0
	s_cmp_lg_u32 s35, s30
	s_cbranch_scc1 .LBB6_17
; %bb.14:                               ;   in Loop: Header=BB6_13 Depth=2
	s_and_not1_b32 vcc_lo, exec_lo, s34
	s_cbranch_vccz .LBB6_18
.LBB6_15:                               ;   in Loop: Header=BB6_13 Depth=2
	s_and_not1_b32 vcc_lo, exec_lo, s33
	s_mov_b32 s31, -1
	s_cbranch_vccnz .LBB6_23
.LBB6_16:                               ;   in Loop: Header=BB6_13 Depth=2
	s_add_co_i32 s22, s22, 1
	s_add_co_i32 s27, s27, s29
	s_cmp_ge_i32 s22, s3
	s_wait_xcnt 0x0
	s_add_nc_u64 s[0:1], s[0:1], 4
	s_cselect_b32 s31, -1, 0
	s_delay_alu instid0(SALU_CYCLE_1)
	s_and_not1_b32 vcc_lo, exec_lo, s31
	s_cbranch_vccnz .LBB6_24
	s_branch .LBB6_27
.LBB6_17:                               ;   in Loop: Header=BB6_13 Depth=2
	s_min_i32 s23, s35, s31
	s_cbranch_execnz .LBB6_15
.LBB6_18:                               ;   in Loop: Header=BB6_13 Depth=2
	ds_store_b32 v3, v4 offset:1024
	s_and_saveexec_b32 s23, s17
	s_cbranch_execz .LBB6_22
; %bb.19:                               ;   in Loop: Header=BB6_13 Depth=2
	s_and_b32 vcc_lo, exec_lo, s28
	s_cbranch_vccz .LBB6_25
; %bb.20:                               ;   in Loop: Header=BB6_13 Depth=2
	v_add_nc_u32_e32 v9, s27, v8
	global_load_b32 v9, v9, s[24:25] scale_offset
	s_wait_loadcnt 0x0
	s_wait_xcnt 0x0
	v_mul_f32_e32 v9, s2, v9
	ds_store_b32 v6, v9
	s_cbranch_execnz .LBB6_22
.LBB6_21:                               ;   in Loop: Header=BB6_13 Depth=2
	v_add_nc_u32_e32 v9, s27, v7
	global_load_b32 v9, v9, s[24:25] scale_offset
	s_wait_loadcnt 0x0
	s_wait_xcnt 0x0
	v_mul_f32_e32 v9, s2, v9
	ds_store_b32 v0, v9
.LBB6_22:                               ;   in Loop: Header=BB6_13 Depth=2
	s_or_b32 exec_lo, exec_lo, s23
	s_mov_b32 s23, s31
	s_and_not1_b32 vcc_lo, exec_lo, s33
	s_mov_b32 s31, -1
	s_cbranch_vccz .LBB6_16
.LBB6_23:                               ;   in Loop: Header=BB6_13 Depth=2
                                        ; implicit-def: $sgpr27
                                        ; implicit-def: $sgpr0_sgpr1
	s_and_not1_b32 vcc_lo, exec_lo, s31
	s_cbranch_vccz .LBB6_27
.LBB6_24:                               ;   in Loop: Header=BB6_13 Depth=2
	s_mov_b32 s31, s23
	s_branch .LBB6_13
.LBB6_25:                               ;   in Loop: Header=BB6_13 Depth=2
	s_branch .LBB6_21
.LBB6_26:                               ;   in Loop: Header=BB6_11 Depth=1
	s_mov_b32 s23, s18
.LBB6_27:                               ;   in Loop: Header=BB6_11 Depth=1
	s_cmp_ge_i32 s26, s7
	s_wait_dscnt 0x0
	s_barrier_signal -1
	s_barrier_wait -1
	s_cbranch_scc1 .LBB6_42
; %bb.28:                               ;   in Loop: Header=BB6_11 Depth=1
	s_wait_xcnt 0x0
	s_mul_i32 s0, s19, s26
	s_ashr_i32 s27, s26, 31
	v_dual_add_nc_u32 v7, s0, v2 :: v_dual_add_nc_u32 v8, s0, v1
	s_lshl_b64 s[0:1], s[26:27], 2
	s_mov_b32 s31, 0
	s_add_nc_u64 s[0:1], s[12:13], s[0:1]
	s_delay_alu instid0(VALU_DEP_1)
	v_mad_u32 v7, s19, v7, v1
	v_mad_u32 v8, s19, v8, v2
.LBB6_29:                               ;   Parent Loop BB6_11 Depth=1
                                        ; =>  This Inner Loop Header: Depth=2
	s_load_b32 s27, s[0:1], 0x0
	s_mov_b32 s34, -1
	s_wait_kmcnt 0x0
	s_sub_co_i32 s35, s27, s5
                                        ; implicit-def: $sgpr27
	s_delay_alu instid0(SALU_CYCLE_1)
	s_cmp_eq_u32 s35, s30
	s_cselect_b32 s33, -1, 0
	s_cmp_lg_u32 s35, s30
	s_cbranch_scc1 .LBB6_33
; %bb.30:                               ;   in Loop: Header=BB6_29 Depth=2
	s_and_not1_b32 vcc_lo, exec_lo, s34
	s_cbranch_vccz .LBB6_34
.LBB6_31:                               ;   in Loop: Header=BB6_29 Depth=2
	s_and_not1_b32 vcc_lo, exec_lo, s33
	s_mov_b32 s23, -1
	s_cbranch_vccnz .LBB6_39
.LBB6_32:                               ;   in Loop: Header=BB6_29 Depth=2
	s_add_co_i32 s26, s26, 1
	s_add_co_i32 s31, s31, s29
	s_cmp_ge_i32 s26, s7
	s_wait_xcnt 0x0
	s_add_nc_u64 s[0:1], s[0:1], 4
	s_cselect_b32 s23, -1, 0
	s_delay_alu instid0(SALU_CYCLE_1)
	s_and_not1_b32 vcc_lo, exec_lo, s23
	s_cbranch_vccnz .LBB6_40
	s_branch .LBB6_43
.LBB6_33:                               ;   in Loop: Header=BB6_29 Depth=2
	s_min_i32 s27, s35, s23
	s_cbranch_execnz .LBB6_31
.LBB6_34:                               ;   in Loop: Header=BB6_29 Depth=2
	ds_store_b32 v3, v4 offset:1024
	s_and_saveexec_b32 s27, s17
	s_cbranch_execz .LBB6_38
; %bb.35:                               ;   in Loop: Header=BB6_29 Depth=2
	s_and_b32 vcc_lo, exec_lo, s28
	s_cbranch_vccz .LBB6_41
; %bb.36:                               ;   in Loop: Header=BB6_29 Depth=2
	v_add_nc_u32_e32 v9, s31, v8
	ds_load_b32 v10, v6
	global_load_b32 v9, v9, s[14:15] scale_offset
	s_wait_loadcnt_dscnt 0x0
	v_fmac_f32_e32 v10, s16, v9
	ds_store_b32 v6, v10
	s_cbranch_execnz .LBB6_38
.LBB6_37:                               ;   in Loop: Header=BB6_29 Depth=2
	s_wait_xcnt 0x0
	v_add_nc_u32_e32 v9, s31, v7
	ds_load_b32 v10, v0
	global_load_b32 v9, v9, s[14:15] scale_offset
	s_wait_loadcnt_dscnt 0x0
	v_fmac_f32_e32 v10, s16, v9
	ds_store_b32 v0, v10
.LBB6_38:                               ;   in Loop: Header=BB6_29 Depth=2
	s_wait_xcnt 0x0
	s_or_b32 exec_lo, exec_lo, s27
	s_mov_b32 s27, s23
	s_and_not1_b32 vcc_lo, exec_lo, s33
	s_mov_b32 s23, -1
	s_cbranch_vccz .LBB6_32
.LBB6_39:                               ;   in Loop: Header=BB6_29 Depth=2
                                        ; implicit-def: $sgpr31
                                        ; implicit-def: $sgpr0_sgpr1
	s_and_not1_b32 vcc_lo, exec_lo, s23
	s_cbranch_vccz .LBB6_43
.LBB6_40:                               ;   in Loop: Header=BB6_29 Depth=2
	s_mov_b32 s23, s27
	s_branch .LBB6_29
.LBB6_41:                               ;   in Loop: Header=BB6_29 Depth=2
	s_branch .LBB6_37
.LBB6_42:                               ;   in Loop: Header=BB6_11 Depth=1
	s_mov_b32 s27, s23
.LBB6_43:                               ;   in Loop: Header=BB6_11 Depth=1
	s_wait_dscnt 0x0
	s_barrier_signal -1
	s_barrier_wait -1
	ds_load_b32 v7, v3 offset:1024
	s_wait_dscnt 0x0
	v_cmp_eq_u32_e32 vcc_lo, 0, v7
	s_cbranch_vccnz .LBB6_10
; %bb.44:                               ;   in Loop: Header=BB6_11 Depth=1
	s_wait_xcnt 0x0
	s_add_co_i32 s0, s30, s6
	s_delay_alu instid0(SALU_CYCLE_1)
	v_mov_b32_e32 v7, s0
	global_store_b32 v5, v7, s[8:9] scale_offset
	s_wait_xcnt 0x0
	s_and_saveexec_b32 s0, s17
	s_cbranch_execz .LBB6_9
; %bb.45:                               ;   in Loop: Header=BB6_11 Depth=1
	v_mul_lo_u32 v7, v5, s19
	s_and_b32 vcc_lo, exec_lo, s28
	s_cbranch_vccz .LBB6_47
; %bb.46:                               ;   in Loop: Header=BB6_11 Depth=1
	ds_load_b32 v8, v6
	v_add_nc_u32_e32 v9, v7, v1
	s_delay_alu instid0(VALU_DEP_1)
	v_mad_u32 v9, v9, s19, v2
	s_wait_dscnt 0x0
	global_store_b32 v9, v8, s[10:11] scale_offset
	s_cbranch_execnz .LBB6_9
	s_branch .LBB6_48
.LBB6_47:                               ;   in Loop: Header=BB6_11 Depth=1
.LBB6_48:                               ;   in Loop: Header=BB6_11 Depth=1
	s_wait_xcnt 0x0
	ds_load_b32 v8, v0
	v_add_nc_u32_e32 v7, v7, v2
	s_delay_alu instid0(VALU_DEP_1)
	v_mad_u32 v7, v7, s19, v1
	s_wait_dscnt 0x0
	global_store_b32 v7, v8, s[10:11] scale_offset
	s_branch .LBB6_9
.LBB6_49:
	s_endpgm
	.section	.rodata,"a",@progbits
	.p2align	6, 0x0
	.amdhsa_kernel _ZN9rocsparseL39bsrgeam_block_per_row_multipass_kernel2ILj256ELj16EfEEv20rocsparse_direction_iiiNS_24const_host_device_scalarIT1_EEPKiS6_PKS3_S4_S6_S6_S8_S6_PiPS3_21rocsparse_index_base_SB_SB_b
		.amdhsa_group_segment_fixed_size 1028
		.amdhsa_private_segment_fixed_size 0
		.amdhsa_kernarg_size 120
		.amdhsa_user_sgpr_count 2
		.amdhsa_user_sgpr_dispatch_ptr 0
		.amdhsa_user_sgpr_queue_ptr 0
		.amdhsa_user_sgpr_kernarg_segment_ptr 1
		.amdhsa_user_sgpr_dispatch_id 0
		.amdhsa_user_sgpr_kernarg_preload_length 0
		.amdhsa_user_sgpr_kernarg_preload_offset 0
		.amdhsa_user_sgpr_private_segment_size 0
		.amdhsa_wavefront_size32 1
		.amdhsa_uses_dynamic_stack 0
		.amdhsa_enable_private_segment 0
		.amdhsa_system_sgpr_workgroup_id_x 1
		.amdhsa_system_sgpr_workgroup_id_y 0
		.amdhsa_system_sgpr_workgroup_id_z 0
		.amdhsa_system_sgpr_workgroup_info 0
		.amdhsa_system_vgpr_workitem_id 0
		.amdhsa_next_free_vgpr 11
		.amdhsa_next_free_sgpr 36
		.amdhsa_named_barrier_count 0
		.amdhsa_reserve_vcc 1
		.amdhsa_float_round_mode_32 0
		.amdhsa_float_round_mode_16_64 0
		.amdhsa_float_denorm_mode_32 3
		.amdhsa_float_denorm_mode_16_64 3
		.amdhsa_fp16_overflow 0
		.amdhsa_memory_ordered 1
		.amdhsa_forward_progress 1
		.amdhsa_inst_pref_size 11
		.amdhsa_round_robin_scheduling 0
		.amdhsa_exception_fp_ieee_invalid_op 0
		.amdhsa_exception_fp_denorm_src 0
		.amdhsa_exception_fp_ieee_div_zero 0
		.amdhsa_exception_fp_ieee_overflow 0
		.amdhsa_exception_fp_ieee_underflow 0
		.amdhsa_exception_fp_ieee_inexact 0
		.amdhsa_exception_int_div_zero 0
	.end_amdhsa_kernel
	.section	.text._ZN9rocsparseL39bsrgeam_block_per_row_multipass_kernel2ILj256ELj16EfEEv20rocsparse_direction_iiiNS_24const_host_device_scalarIT1_EEPKiS6_PKS3_S4_S6_S6_S8_S6_PiPS3_21rocsparse_index_base_SB_SB_b,"axG",@progbits,_ZN9rocsparseL39bsrgeam_block_per_row_multipass_kernel2ILj256ELj16EfEEv20rocsparse_direction_iiiNS_24const_host_device_scalarIT1_EEPKiS6_PKS3_S4_S6_S6_S8_S6_PiPS3_21rocsparse_index_base_SB_SB_b,comdat
.Lfunc_end6:
	.size	_ZN9rocsparseL39bsrgeam_block_per_row_multipass_kernel2ILj256ELj16EfEEv20rocsparse_direction_iiiNS_24const_host_device_scalarIT1_EEPKiS6_PKS3_S4_S6_S6_S8_S6_PiPS3_21rocsparse_index_base_SB_SB_b, .Lfunc_end6-_ZN9rocsparseL39bsrgeam_block_per_row_multipass_kernel2ILj256ELj16EfEEv20rocsparse_direction_iiiNS_24const_host_device_scalarIT1_EEPKiS6_PKS3_S4_S6_S6_S8_S6_PiPS3_21rocsparse_index_base_SB_SB_b
                                        ; -- End function
	.set _ZN9rocsparseL39bsrgeam_block_per_row_multipass_kernel2ILj256ELj16EfEEv20rocsparse_direction_iiiNS_24const_host_device_scalarIT1_EEPKiS6_PKS3_S4_S6_S6_S8_S6_PiPS3_21rocsparse_index_base_SB_SB_b.num_vgpr, 11
	.set _ZN9rocsparseL39bsrgeam_block_per_row_multipass_kernel2ILj256ELj16EfEEv20rocsparse_direction_iiiNS_24const_host_device_scalarIT1_EEPKiS6_PKS3_S4_S6_S6_S8_S6_PiPS3_21rocsparse_index_base_SB_SB_b.num_agpr, 0
	.set _ZN9rocsparseL39bsrgeam_block_per_row_multipass_kernel2ILj256ELj16EfEEv20rocsparse_direction_iiiNS_24const_host_device_scalarIT1_EEPKiS6_PKS3_S4_S6_S6_S8_S6_PiPS3_21rocsparse_index_base_SB_SB_b.numbered_sgpr, 36
	.set _ZN9rocsparseL39bsrgeam_block_per_row_multipass_kernel2ILj256ELj16EfEEv20rocsparse_direction_iiiNS_24const_host_device_scalarIT1_EEPKiS6_PKS3_S4_S6_S6_S8_S6_PiPS3_21rocsparse_index_base_SB_SB_b.num_named_barrier, 0
	.set _ZN9rocsparseL39bsrgeam_block_per_row_multipass_kernel2ILj256ELj16EfEEv20rocsparse_direction_iiiNS_24const_host_device_scalarIT1_EEPKiS6_PKS3_S4_S6_S6_S8_S6_PiPS3_21rocsparse_index_base_SB_SB_b.private_seg_size, 0
	.set _ZN9rocsparseL39bsrgeam_block_per_row_multipass_kernel2ILj256ELj16EfEEv20rocsparse_direction_iiiNS_24const_host_device_scalarIT1_EEPKiS6_PKS3_S4_S6_S6_S8_S6_PiPS3_21rocsparse_index_base_SB_SB_b.uses_vcc, 1
	.set _ZN9rocsparseL39bsrgeam_block_per_row_multipass_kernel2ILj256ELj16EfEEv20rocsparse_direction_iiiNS_24const_host_device_scalarIT1_EEPKiS6_PKS3_S4_S6_S6_S8_S6_PiPS3_21rocsparse_index_base_SB_SB_b.uses_flat_scratch, 0
	.set _ZN9rocsparseL39bsrgeam_block_per_row_multipass_kernel2ILj256ELj16EfEEv20rocsparse_direction_iiiNS_24const_host_device_scalarIT1_EEPKiS6_PKS3_S4_S6_S6_S8_S6_PiPS3_21rocsparse_index_base_SB_SB_b.has_dyn_sized_stack, 0
	.set _ZN9rocsparseL39bsrgeam_block_per_row_multipass_kernel2ILj256ELj16EfEEv20rocsparse_direction_iiiNS_24const_host_device_scalarIT1_EEPKiS6_PKS3_S4_S6_S6_S8_S6_PiPS3_21rocsparse_index_base_SB_SB_b.has_recursion, 0
	.set _ZN9rocsparseL39bsrgeam_block_per_row_multipass_kernel2ILj256ELj16EfEEv20rocsparse_direction_iiiNS_24const_host_device_scalarIT1_EEPKiS6_PKS3_S4_S6_S6_S8_S6_PiPS3_21rocsparse_index_base_SB_SB_b.has_indirect_call, 0
	.section	.AMDGPU.csdata,"",@progbits
; Kernel info:
; codeLenInByte = 1400
; TotalNumSgprs: 38
; NumVgprs: 11
; ScratchSize: 0
; MemoryBound: 0
; FloatMode: 240
; IeeeMode: 1
; LDSByteSize: 1028 bytes/workgroup (compile time only)
; SGPRBlocks: 0
; VGPRBlocks: 0
; NumSGPRsForWavesPerEU: 38
; NumVGPRsForWavesPerEU: 11
; NamedBarCnt: 0
; Occupancy: 16
; WaveLimiterHint : 1
; COMPUTE_PGM_RSRC2:SCRATCH_EN: 0
; COMPUTE_PGM_RSRC2:USER_SGPR: 2
; COMPUTE_PGM_RSRC2:TRAP_HANDLER: 0
; COMPUTE_PGM_RSRC2:TGID_X_EN: 1
; COMPUTE_PGM_RSRC2:TGID_Y_EN: 0
; COMPUTE_PGM_RSRC2:TGID_Z_EN: 0
; COMPUTE_PGM_RSRC2:TIDIG_COMP_CNT: 0
	.section	.text._ZN9rocsparseL39bsrgeam_block_per_row_multipass_kernel2ILj256ELj32EfEEv20rocsparse_direction_iiiNS_24const_host_device_scalarIT1_EEPKiS6_PKS3_S4_S6_S6_S8_S6_PiPS3_21rocsparse_index_base_SB_SB_b,"axG",@progbits,_ZN9rocsparseL39bsrgeam_block_per_row_multipass_kernel2ILj256ELj32EfEEv20rocsparse_direction_iiiNS_24const_host_device_scalarIT1_EEPKiS6_PKS3_S4_S6_S6_S8_S6_PiPS3_21rocsparse_index_base_SB_SB_b,comdat
	.globl	_ZN9rocsparseL39bsrgeam_block_per_row_multipass_kernel2ILj256ELj32EfEEv20rocsparse_direction_iiiNS_24const_host_device_scalarIT1_EEPKiS6_PKS3_S4_S6_S6_S8_S6_PiPS3_21rocsparse_index_base_SB_SB_b ; -- Begin function _ZN9rocsparseL39bsrgeam_block_per_row_multipass_kernel2ILj256ELj32EfEEv20rocsparse_direction_iiiNS_24const_host_device_scalarIT1_EEPKiS6_PKS3_S4_S6_S6_S8_S6_PiPS3_21rocsparse_index_base_SB_SB_b
	.p2align	8
	.type	_ZN9rocsparseL39bsrgeam_block_per_row_multipass_kernel2ILj256ELj32EfEEv20rocsparse_direction_iiiNS_24const_host_device_scalarIT1_EEPKiS6_PKS3_S4_S6_S6_S8_S6_PiPS3_21rocsparse_index_base_SB_SB_b,@function
_ZN9rocsparseL39bsrgeam_block_per_row_multipass_kernel2ILj256ELj32EfEEv20rocsparse_direction_iiiNS_24const_host_device_scalarIT1_EEPKiS6_PKS3_S4_S6_S6_S8_S6_PiPS3_21rocsparse_index_base_SB_SB_b: ; @_ZN9rocsparseL39bsrgeam_block_per_row_multipass_kernel2ILj256ELj32EfEEv20rocsparse_direction_iiiNS_24const_host_device_scalarIT1_EEPKiS6_PKS3_S4_S6_S6_S8_S6_PiPS3_21rocsparse_index_base_SB_SB_b
; %bb.0:
	s_clause 0x2
	s_load_b128 s[4:7], s[0:1], 0x68
	s_load_b64 s[2:3], s[0:1], 0x10
	s_load_b64 s[16:17], s[0:1], 0x30
	s_wait_kmcnt 0x0
	s_bitcmp1_b32 s7, 0
	s_cselect_b32 s7, -1, 0
	s_delay_alu instid0(SALU_CYCLE_1)
	s_and_b32 vcc_lo, exec_lo, s7
	s_xor_b32 s7, s7, -1
	s_cbranch_vccnz .LBB7_2
; %bb.1:
	s_load_b32 s2, s[2:3], 0x0
.LBB7_2:
	s_clause 0x2
	s_load_b64 s[8:9], s[0:1], 0x50
	s_load_b64 s[12:13], s[0:1], 0x18
	;; [unrolled: 1-line block ×3, first 2 shown]
	s_and_not1_b32 vcc_lo, exec_lo, s7
	s_cbranch_vccnz .LBB7_4
; %bb.3:
	s_load_b32 s16, s[16:17], 0x0
.LBB7_4:
	s_wait_xcnt 0x0
	s_bfe_u32 s3, ttmp6, 0x4000c
	s_and_b32 s7, ttmp6, 15
	s_add_co_i32 s3, s3, 1
	s_getreg_b32 s14, hwreg(HW_REG_IB_STS2, 6, 4)
	s_mul_i32 s3, ttmp9, s3
	s_delay_alu instid0(SALU_CYCLE_1) | instskip(SKIP_2) | instid1(SALU_CYCLE_1)
	s_add_co_i32 s7, s7, s3
	s_cmp_eq_u32 s14, 0
	s_cselect_b32 s14, ttmp9, s7
	s_ashr_i32 s15, s14, 31
	s_delay_alu instid0(SALU_CYCLE_1)
	s_lshl_b64 s[14:15], s[14:15], 2
	s_wait_kmcnt 0x0
	s_add_nc_u64 s[12:13], s[12:13], s[14:15]
	s_add_nc_u64 s[10:11], s[10:11], s[14:15]
	s_load_b64 s[28:29], s[12:13], 0x0
	s_clause 0x1
	s_load_b64 s[18:19], s[0:1], 0x8
	s_load_b64 s[20:21], s[0:1], 0x20
	;; [unrolled: 1-line block ×3, first 2 shown]
	s_add_nc_u64 s[26:27], s[8:9], s[14:15]
	s_wait_kmcnt 0x0
	s_mov_b32 s17, s18
	s_sub_co_i32 s22, s28, s4
	s_cmp_ge_i32 s28, s29
	s_cbranch_scc1 .LBB7_6
; %bb.5:
	s_ashr_i32 s23, s22, 31
	s_delay_alu instid0(SALU_CYCLE_1) | instskip(NEXT) | instid1(SALU_CYCLE_1)
	s_lshl_b64 s[8:9], s[22:23], 2
	s_add_nc_u64 s[8:9], s[20:21], s[8:9]
	s_load_b32 s3, s[8:9], 0x0
	s_wait_kmcnt 0x0
	s_sub_co_i32 s17, s3, s4
.LBB7_6:
	s_clause 0x2
	s_load_b128 s[8:11], s[0:1], 0x58
	s_load_b64 s[24:25], s[0:1], 0x28
	s_load_b128 s[12:15], s[0:1], 0x40
	s_load_b32 s23, s[26:27], 0x0
	s_wait_xcnt 0x0
	s_sub_co_i32 s26, s30, s5
	s_cmp_ge_i32 s30, s31
	s_mov_b32 s27, s18
	s_cbranch_scc1 .LBB7_8
; %bb.7:
	s_ashr_i32 s27, s26, 31
	s_delay_alu instid0(SALU_CYCLE_1)
	s_lshl_b64 s[34:35], s[26:27], 2
	s_wait_kmcnt 0x0
	s_add_nc_u64 s[34:35], s[12:13], s[34:35]
	s_load_b32 s3, s[34:35], 0x0
	s_wait_kmcnt 0x0
	s_sub_co_i32 s27, s3, s5
.LBB7_8:
	s_load_b32 s28, s[0:1], 0x0
	v_dual_lshrrev_b32 v1, 3, v0 :: v_dual_bitop2_b32 v0, 7, v0 bitop3:0x40
	s_wait_kmcnt 0x0
	s_sub_co_i32 s23, s23, s6
	s_sub_co_i32 s3, s29, s4
	;; [unrolled: 1-line block ×3, first 2 shown]
	v_dual_lshlrev_b32 v6, 7, v1 :: v_dual_bitop2_b32 v2, 8, v0 bitop3:0x54
	v_cmp_gt_i32_e32 vcc_lo, s19, v1
	v_cmp_gt_u32_e64 s0, s19, v0
	v_dual_mov_b32 v13, s23 :: v_dual_bitop2_b32 v4, 16, v0 bitop3:0x54
	v_dual_mov_b32 v14, 0 :: v_dual_bitop2_b32 v5, 24, v0 bitop3:0x54
	v_cmp_gt_u32_e64 s1, s19, v2
	s_min_i32 s34, s27, s17
	v_lshl_or_b32 v3, v0, 2, v6
	v_mad_i32_i24 v12, 0xffffff84, v1, v6
	v_mov_b32_e32 v15, 1
	s_mul_i32 s33, s19, s19
	s_cmp_lg_u32 s28, 0
	v_or_b32_e32 v6, 32, v3
	s_cselect_b32 s17, -1, 0
	s_and_b32 s28, vcc_lo, s0
	s_and_b32 s29, vcc_lo, s1
	v_cmp_gt_u32_e64 s0, s19, v4
	v_cmp_gt_u32_e64 s1, s19, v5
	v_or_b32_e32 v7, 64, v3
	v_or_b32_e32 v8, 0x60, v3
	v_lshl_add_u32 v9, v0, 7, v12
	v_lshl_add_u32 v10, v2, 7, v12
	;; [unrolled: 1-line block ×4, first 2 shown]
	s_and_b32 s30, vcc_lo, s0
	s_and_b32 s31, vcc_lo, s1
	s_branch .LBB7_12
.LBB7_9:                                ;   in Loop: Header=BB7_12 Depth=1
	ds_load_b32 v16, v18
	s_wait_dscnt 0x0
	global_store_b32 v17, v16, s[10:11] scale_offset
.LBB7_10:                               ;   in Loop: Header=BB7_12 Depth=1
	s_wait_xcnt 0x0
	s_or_b32 exec_lo, exec_lo, s0
.LBB7_11:                               ;   in Loop: Header=BB7_12 Depth=1
	s_wait_storecnt 0x0
	s_barrier_signal -1
	s_barrier_wait -1
	ds_load_b32 v16, v14 offset:4096
	s_cmp_lt_i32 s27, s18
	s_mov_b32 s34, s27
	s_wait_dscnt 0x0
	s_barrier_signal -1
	s_barrier_wait -1
	v_add_nc_u32_e32 v13, v16, v13
	s_cbranch_scc0 .LBB7_98
.LBB7_12:                               ; =>This Loop Header: Depth=1
                                        ;     Child Loop BB7_14 Depth 2
                                        ;     Child Loop BB7_45 Depth 2
	s_cmp_ge_i32 s22, s3
	ds_store_b32 v14, v14 offset:4096
	ds_store_2addr_b32 v3, v14, v14 offset1:8
	ds_store_2addr_b32 v3, v14, v14 offset0:16 offset1:24
	s_wait_dscnt 0x0
	s_barrier_signal -1
	s_barrier_wait -1
	s_cbranch_scc1 .LBB7_42
; %bb.13:                               ;   in Loop: Header=BB7_12 Depth=1
	s_wait_xcnt 0x0
	s_mul_i32 s0, s19, s22
	s_ashr_i32 s23, s22, 31
	v_dual_add_nc_u32 v16, s0, v0 :: v_dual_add_nc_u32 v17, s0, v2
	v_dual_add_nc_u32 v18, s0, v4 :: v_dual_add_nc_u32 v19, s0, v5
	v_add_nc_u32_e32 v20, s0, v1
	s_delay_alu instid0(VALU_DEP_3) | instskip(NEXT) | instid1(VALU_DEP_4)
	v_mad_u32 v16, s19, v16, v1
	v_mad_u32 v17, s19, v17, v1
	s_delay_alu instid0(VALU_DEP_4)
	v_mad_u32 v18, s19, v18, v1
	v_mad_u32 v19, s19, v19, v1
	;; [unrolled: 1-line block ×3, first 2 shown]
	s_lshl_b64 s[0:1], s[22:23], 2
	s_mov_b32 s27, 0
	s_add_nc_u64 s[0:1], s[20:21], s[0:1]
	s_mov_b32 s35, s18
.LBB7_14:                               ;   Parent Loop BB7_12 Depth=1
                                        ; =>  This Inner Loop Header: Depth=2
	s_load_b32 s23, s[0:1], 0x0
	s_mov_b32 s37, -1
	s_wait_kmcnt 0x0
	s_sub_co_i32 s38, s23, s4
                                        ; implicit-def: $sgpr23
	s_delay_alu instid0(SALU_CYCLE_1)
	s_cmp_eq_u32 s38, s34
	s_cselect_b32 s36, -1, 0
	s_cmp_lg_u32 s38, s34
	s_cbranch_scc1 .LBB7_18
; %bb.15:                               ;   in Loop: Header=BB7_14 Depth=2
	s_and_not1_b32 vcc_lo, exec_lo, s37
	s_cbranch_vccz .LBB7_19
.LBB7_16:                               ;   in Loop: Header=BB7_14 Depth=2
	s_and_not1_b32 vcc_lo, exec_lo, s36
	s_mov_b32 s35, -1
	s_cbranch_vccnz .LBB7_36
.LBB7_17:                               ;   in Loop: Header=BB7_14 Depth=2
	s_add_co_i32 s22, s22, 1
	s_add_co_i32 s27, s27, s33
	s_cmp_ge_i32 s22, s3
	s_wait_xcnt 0x0
	s_add_nc_u64 s[0:1], s[0:1], 4
	s_cselect_b32 s35, -1, 0
	s_delay_alu instid0(SALU_CYCLE_1)
	s_and_not1_b32 vcc_lo, exec_lo, s35
	s_cbranch_vccnz .LBB7_37
	s_branch .LBB7_43
.LBB7_18:                               ;   in Loop: Header=BB7_14 Depth=2
	s_min_i32 s23, s38, s35
	s_cbranch_execnz .LBB7_16
.LBB7_19:                               ;   in Loop: Header=BB7_14 Depth=2
	ds_store_b32 v14, v15 offset:4096
	s_and_saveexec_b32 s23, s28
	s_cbranch_execz .LBB7_23
; %bb.20:                               ;   in Loop: Header=BB7_14 Depth=2
	s_and_b32 vcc_lo, exec_lo, s17
	s_cbranch_vccz .LBB7_38
; %bb.21:                               ;   in Loop: Header=BB7_14 Depth=2
	v_add_nc_u32_e32 v21, s27, v16
	global_load_b32 v21, v21, s[24:25] scale_offset
	s_wait_loadcnt 0x0
	s_wait_xcnt 0x0
	v_mul_f32_e32 v21, s2, v21
	ds_store_b32 v9, v21
	s_cbranch_execnz .LBB7_23
.LBB7_22:                               ;   in Loop: Header=BB7_14 Depth=2
	v_add_nc_u32_e32 v21, s27, v20
	global_load_b32 v21, v21, s[24:25] scale_offset
	s_wait_loadcnt 0x0
	s_wait_xcnt 0x0
	v_mul_f32_e32 v21, s2, v21
	ds_store_b32 v3, v21
.LBB7_23:                               ;   in Loop: Header=BB7_14 Depth=2
	s_or_b32 exec_lo, exec_lo, s23
	s_and_saveexec_b32 s23, s29
	s_cbranch_execz .LBB7_27
; %bb.24:                               ;   in Loop: Header=BB7_14 Depth=2
	s_and_not1_b32 vcc_lo, exec_lo, s17
	s_cbranch_vccnz .LBB7_39
; %bb.25:                               ;   in Loop: Header=BB7_14 Depth=2
	v_add_nc_u32_e32 v21, s27, v17
	global_load_b32 v21, v21, s[24:25] scale_offset
	s_wait_loadcnt 0x0
	s_wait_xcnt 0x0
	v_mul_f32_e32 v21, s2, v21
	ds_store_b32 v10, v21
	s_cbranch_execnz .LBB7_27
.LBB7_26:                               ;   in Loop: Header=BB7_14 Depth=2
	v_add3_u32 v21, v20, s27, 8
	global_load_b32 v21, v21, s[24:25] scale_offset
	s_wait_loadcnt 0x0
	s_wait_xcnt 0x0
	v_mul_f32_e32 v21, s2, v21
	ds_store_b32 v6, v21
.LBB7_27:                               ;   in Loop: Header=BB7_14 Depth=2
	s_or_b32 exec_lo, exec_lo, s23
	s_and_saveexec_b32 s23, s30
	s_cbranch_execz .LBB7_31
; %bb.28:                               ;   in Loop: Header=BB7_14 Depth=2
	s_and_not1_b32 vcc_lo, exec_lo, s17
	s_cbranch_vccnz .LBB7_40
; %bb.29:                               ;   in Loop: Header=BB7_14 Depth=2
	v_add_nc_u32_e32 v21, s27, v18
	global_load_b32 v21, v21, s[24:25] scale_offset
	s_wait_loadcnt 0x0
	s_wait_xcnt 0x0
	v_mul_f32_e32 v21, s2, v21
	ds_store_b32 v11, v21
	s_cbranch_execnz .LBB7_31
.LBB7_30:                               ;   in Loop: Header=BB7_14 Depth=2
	v_add3_u32 v21, v20, s27, 16
	global_load_b32 v21, v21, s[24:25] scale_offset
	s_wait_loadcnt 0x0
	s_wait_xcnt 0x0
	v_mul_f32_e32 v21, s2, v21
	ds_store_b32 v7, v21
.LBB7_31:                               ;   in Loop: Header=BB7_14 Depth=2
	s_or_b32 exec_lo, exec_lo, s23
	s_and_saveexec_b32 s23, s31
	s_cbranch_execz .LBB7_35
; %bb.32:                               ;   in Loop: Header=BB7_14 Depth=2
	s_and_not1_b32 vcc_lo, exec_lo, s17
	s_cbranch_vccnz .LBB7_41
; %bb.33:                               ;   in Loop: Header=BB7_14 Depth=2
	v_add_nc_u32_e32 v21, s27, v19
	global_load_b32 v21, v21, s[24:25] scale_offset
	s_wait_loadcnt 0x0
	s_wait_xcnt 0x0
	v_mul_f32_e32 v21, s2, v21
	ds_store_b32 v12, v21
	s_cbranch_execnz .LBB7_35
.LBB7_34:                               ;   in Loop: Header=BB7_14 Depth=2
	v_add3_u32 v21, v20, s27, 24
	global_load_b32 v21, v21, s[24:25] scale_offset
	s_wait_loadcnt 0x0
	s_wait_xcnt 0x0
	v_mul_f32_e32 v21, s2, v21
	ds_store_b32 v8, v21
.LBB7_35:                               ;   in Loop: Header=BB7_14 Depth=2
	s_or_b32 exec_lo, exec_lo, s23
	s_mov_b32 s23, s35
	s_and_not1_b32 vcc_lo, exec_lo, s36
	s_mov_b32 s35, -1
	s_cbranch_vccz .LBB7_17
.LBB7_36:                               ;   in Loop: Header=BB7_14 Depth=2
                                        ; implicit-def: $sgpr27
                                        ; implicit-def: $sgpr0_sgpr1
	s_and_not1_b32 vcc_lo, exec_lo, s35
	s_cbranch_vccz .LBB7_43
.LBB7_37:                               ;   in Loop: Header=BB7_14 Depth=2
	s_mov_b32 s35, s23
	s_branch .LBB7_14
.LBB7_38:                               ;   in Loop: Header=BB7_14 Depth=2
	s_branch .LBB7_22
.LBB7_39:                               ;   in Loop: Header=BB7_14 Depth=2
	s_branch .LBB7_26
.LBB7_40:                               ;   in Loop: Header=BB7_14 Depth=2
	s_branch .LBB7_30
.LBB7_41:                               ;   in Loop: Header=BB7_14 Depth=2
	s_branch .LBB7_34
.LBB7_42:                               ;   in Loop: Header=BB7_12 Depth=1
	s_mov_b32 s23, s18
.LBB7_43:                               ;   in Loop: Header=BB7_12 Depth=1
	s_cmp_ge_i32 s26, s7
	s_wait_dscnt 0x0
	s_barrier_signal -1
	s_barrier_wait -1
	s_cbranch_scc1 .LBB7_73
; %bb.44:                               ;   in Loop: Header=BB7_12 Depth=1
	s_wait_xcnt 0x0
	s_mul_i32 s0, s19, s26
	s_ashr_i32 s27, s26, 31
	v_dual_add_nc_u32 v16, s0, v0 :: v_dual_add_nc_u32 v17, s0, v2
	v_dual_add_nc_u32 v18, s0, v4 :: v_dual_add_nc_u32 v19, s0, v5
	v_add_nc_u32_e32 v20, s0, v1
	s_delay_alu instid0(VALU_DEP_3) | instskip(NEXT) | instid1(VALU_DEP_4)
	v_mad_u32 v16, s19, v16, v1
	v_mad_u32 v17, s19, v17, v1
	s_delay_alu instid0(VALU_DEP_4)
	v_mad_u32 v18, s19, v18, v1
	v_mad_u32 v19, s19, v19, v1
	;; [unrolled: 1-line block ×3, first 2 shown]
	s_lshl_b64 s[0:1], s[26:27], 2
	s_mov_b32 s35, 0
	s_add_nc_u64 s[0:1], s[12:13], s[0:1]
.LBB7_45:                               ;   Parent Loop BB7_12 Depth=1
                                        ; =>  This Inner Loop Header: Depth=2
	s_load_b32 s27, s[0:1], 0x0
	s_mov_b32 s37, -1
	s_wait_kmcnt 0x0
	s_sub_co_i32 s38, s27, s5
                                        ; implicit-def: $sgpr27
	s_delay_alu instid0(SALU_CYCLE_1)
	s_cmp_eq_u32 s38, s34
	s_cselect_b32 s36, -1, 0
	s_cmp_lg_u32 s38, s34
	s_cbranch_scc1 .LBB7_49
; %bb.46:                               ;   in Loop: Header=BB7_45 Depth=2
	s_and_not1_b32 vcc_lo, exec_lo, s37
	s_cbranch_vccz .LBB7_50
.LBB7_47:                               ;   in Loop: Header=BB7_45 Depth=2
	s_and_not1_b32 vcc_lo, exec_lo, s36
	s_mov_b32 s23, -1
	s_cbranch_vccnz .LBB7_67
.LBB7_48:                               ;   in Loop: Header=BB7_45 Depth=2
	s_add_co_i32 s26, s26, 1
	s_add_co_i32 s35, s35, s33
	s_cmp_ge_i32 s26, s7
	s_wait_xcnt 0x0
	s_add_nc_u64 s[0:1], s[0:1], 4
	s_cselect_b32 s23, -1, 0
	s_delay_alu instid0(SALU_CYCLE_1)
	s_and_not1_b32 vcc_lo, exec_lo, s23
	s_cbranch_vccnz .LBB7_68
	s_branch .LBB7_74
.LBB7_49:                               ;   in Loop: Header=BB7_45 Depth=2
	s_min_i32 s27, s38, s23
	s_cbranch_execnz .LBB7_47
.LBB7_50:                               ;   in Loop: Header=BB7_45 Depth=2
	ds_store_b32 v14, v15 offset:4096
	s_and_saveexec_b32 s27, s28
	s_cbranch_execz .LBB7_54
; %bb.51:                               ;   in Loop: Header=BB7_45 Depth=2
	s_and_b32 vcc_lo, exec_lo, s17
	s_cbranch_vccz .LBB7_69
; %bb.52:                               ;   in Loop: Header=BB7_45 Depth=2
	v_add_nc_u32_e32 v21, s35, v16
	ds_load_b32 v22, v9
	global_load_b32 v21, v21, s[14:15] scale_offset
	s_wait_loadcnt_dscnt 0x0
	v_fmac_f32_e32 v22, s16, v21
	ds_store_b32 v9, v22
	s_cbranch_execnz .LBB7_54
.LBB7_53:                               ;   in Loop: Header=BB7_45 Depth=2
	s_wait_xcnt 0x0
	v_add_nc_u32_e32 v21, s35, v20
	ds_load_b32 v22, v3
	global_load_b32 v21, v21, s[14:15] scale_offset
	s_wait_loadcnt_dscnt 0x0
	v_fmac_f32_e32 v22, s16, v21
	ds_store_b32 v3, v22
.LBB7_54:                               ;   in Loop: Header=BB7_45 Depth=2
	s_wait_xcnt 0x0
	s_or_b32 exec_lo, exec_lo, s27
	s_and_saveexec_b32 s27, s29
	s_cbranch_execz .LBB7_58
; %bb.55:                               ;   in Loop: Header=BB7_45 Depth=2
	s_and_not1_b32 vcc_lo, exec_lo, s17
	s_cbranch_vccnz .LBB7_70
; %bb.56:                               ;   in Loop: Header=BB7_45 Depth=2
	v_add_nc_u32_e32 v21, s35, v17
	ds_load_b32 v22, v10
	global_load_b32 v21, v21, s[14:15] scale_offset
	s_wait_loadcnt_dscnt 0x0
	v_fmac_f32_e32 v22, s16, v21
	ds_store_b32 v10, v22
	s_cbranch_execnz .LBB7_58
.LBB7_57:                               ;   in Loop: Header=BB7_45 Depth=2
	v_add3_u32 v21, v20, s35, 8
	ds_load_b32 v22, v6
	global_load_b32 v21, v21, s[14:15] scale_offset
	s_wait_loadcnt_dscnt 0x0
	v_fmac_f32_e32 v22, s16, v21
	ds_store_b32 v6, v22
.LBB7_58:                               ;   in Loop: Header=BB7_45 Depth=2
	s_or_b32 exec_lo, exec_lo, s27
	s_and_saveexec_b32 s27, s30
	s_cbranch_execz .LBB7_62
; %bb.59:                               ;   in Loop: Header=BB7_45 Depth=2
	s_and_not1_b32 vcc_lo, exec_lo, s17
	s_cbranch_vccnz .LBB7_71
; %bb.60:                               ;   in Loop: Header=BB7_45 Depth=2
	v_add_nc_u32_e32 v21, s35, v18
	ds_load_b32 v22, v11
	global_load_b32 v21, v21, s[14:15] scale_offset
	s_wait_loadcnt_dscnt 0x0
	v_fmac_f32_e32 v22, s16, v21
	ds_store_b32 v11, v22
	s_cbranch_execnz .LBB7_62
.LBB7_61:                               ;   in Loop: Header=BB7_45 Depth=2
	v_add3_u32 v21, v20, s35, 16
	ds_load_b32 v22, v7
	global_load_b32 v21, v21, s[14:15] scale_offset
	s_wait_loadcnt_dscnt 0x0
	v_fmac_f32_e32 v22, s16, v21
	ds_store_b32 v7, v22
.LBB7_62:                               ;   in Loop: Header=BB7_45 Depth=2
	s_or_b32 exec_lo, exec_lo, s27
	s_and_saveexec_b32 s27, s31
	s_cbranch_execz .LBB7_66
; %bb.63:                               ;   in Loop: Header=BB7_45 Depth=2
	s_and_not1_b32 vcc_lo, exec_lo, s17
	s_cbranch_vccnz .LBB7_72
; %bb.64:                               ;   in Loop: Header=BB7_45 Depth=2
	v_add_nc_u32_e32 v21, s35, v19
	ds_load_b32 v22, v12
	global_load_b32 v21, v21, s[14:15] scale_offset
	s_wait_loadcnt_dscnt 0x0
	v_fmac_f32_e32 v22, s16, v21
	ds_store_b32 v12, v22
	s_cbranch_execnz .LBB7_66
.LBB7_65:                               ;   in Loop: Header=BB7_45 Depth=2
	v_add3_u32 v21, v20, s35, 24
	ds_load_b32 v22, v8
	global_load_b32 v21, v21, s[14:15] scale_offset
	s_wait_loadcnt_dscnt 0x0
	v_fmac_f32_e32 v22, s16, v21
	ds_store_b32 v8, v22
.LBB7_66:                               ;   in Loop: Header=BB7_45 Depth=2
	s_or_b32 exec_lo, exec_lo, s27
	s_mov_b32 s27, s23
	s_and_not1_b32 vcc_lo, exec_lo, s36
	s_mov_b32 s23, -1
	s_cbranch_vccz .LBB7_48
.LBB7_67:                               ;   in Loop: Header=BB7_45 Depth=2
                                        ; implicit-def: $sgpr35
                                        ; implicit-def: $sgpr0_sgpr1
	s_and_not1_b32 vcc_lo, exec_lo, s23
	s_cbranch_vccz .LBB7_74
.LBB7_68:                               ;   in Loop: Header=BB7_45 Depth=2
	s_mov_b32 s23, s27
	s_branch .LBB7_45
.LBB7_69:                               ;   in Loop: Header=BB7_45 Depth=2
	s_branch .LBB7_53
.LBB7_70:                               ;   in Loop: Header=BB7_45 Depth=2
	s_branch .LBB7_57
.LBB7_71:                               ;   in Loop: Header=BB7_45 Depth=2
	s_branch .LBB7_61
.LBB7_72:                               ;   in Loop: Header=BB7_45 Depth=2
	s_branch .LBB7_65
.LBB7_73:                               ;   in Loop: Header=BB7_12 Depth=1
	s_mov_b32 s27, s23
.LBB7_74:                               ;   in Loop: Header=BB7_12 Depth=1
	s_wait_dscnt 0x0
	s_barrier_signal -1
	s_barrier_wait -1
	ds_load_b32 v16, v14 offset:4096
	s_wait_dscnt 0x0
	v_cmp_eq_u32_e32 vcc_lo, 0, v16
	s_cbranch_vccnz .LBB7_11
; %bb.75:                               ;   in Loop: Header=BB7_12 Depth=1
	v_mul_lo_u32 v17, v13, s19
	s_wait_xcnt 0x0
	s_add_co_i32 s0, s34, s6
	s_delay_alu instid0(SALU_CYCLE_1) | instskip(SKIP_2) | instid1(VALU_DEP_1)
	v_mov_b32_e32 v18, s0
	global_store_b32 v13, v18, s[8:9] scale_offset
	v_add_nc_u32_e32 v16, v17, v1
	v_mul_lo_u32 v16, v16, s19
	s_wait_xcnt 0x0
	s_and_saveexec_b32 s0, s28
	s_cbranch_execnz .LBB7_79
; %bb.76:                               ;   in Loop: Header=BB7_12 Depth=1
	s_or_b32 exec_lo, exec_lo, s0
	s_and_saveexec_b32 s0, s29
	s_cbranch_execnz .LBB7_83
.LBB7_77:                               ;   in Loop: Header=BB7_12 Depth=1
	s_or_b32 exec_lo, exec_lo, s0
	s_and_saveexec_b32 s0, s30
	s_cbranch_execnz .LBB7_87
.LBB7_78:                               ;   in Loop: Header=BB7_12 Depth=1
	s_or_b32 exec_lo, exec_lo, s0
	s_and_saveexec_b32 s0, s31
	s_cbranch_execz .LBB7_10
	s_branch .LBB7_91
.LBB7_79:                               ;   in Loop: Header=BB7_12 Depth=1
	s_and_b32 vcc_lo, exec_lo, s17
	s_cbranch_vccz .LBB7_93
; %bb.80:                               ;   in Loop: Header=BB7_12 Depth=1
	v_add_nc_u32_e32 v18, v17, v0
	s_delay_alu instid0(VALU_DEP_1)
	v_mad_u32 v18, v18, s19, v1
	v_mov_b32_e32 v19, v9
	s_cbranch_execnz .LBB7_82
.LBB7_81:                               ;   in Loop: Header=BB7_12 Depth=1
	s_delay_alu instid0(VALU_DEP_2)
	v_dual_mov_b32 v19, v3 :: v_dual_add_nc_u32 v18, v16, v0
.LBB7_82:                               ;   in Loop: Header=BB7_12 Depth=1
	ds_load_b32 v19, v19
	s_wait_dscnt 0x0
	global_store_b32 v18, v19, s[10:11] scale_offset
	s_wait_xcnt 0x0
	s_or_b32 exec_lo, exec_lo, s0
	s_and_saveexec_b32 s0, s29
	s_cbranch_execz .LBB7_77
.LBB7_83:                               ;   in Loop: Header=BB7_12 Depth=1
	s_and_not1_b32 vcc_lo, exec_lo, s17
	s_cbranch_vccnz .LBB7_94
; %bb.84:                               ;   in Loop: Header=BB7_12 Depth=1
	v_add_nc_u32_e32 v18, v17, v2
	s_delay_alu instid0(VALU_DEP_1)
	v_mad_u32 v18, v18, s19, v1
	v_mov_b32_e32 v19, v10
	s_cbranch_execnz .LBB7_86
.LBB7_85:                               ;   in Loop: Header=BB7_12 Depth=1
	v_dual_mov_b32 v19, v6 :: v_dual_add_nc_u32 v18, v16, v2
.LBB7_86:                               ;   in Loop: Header=BB7_12 Depth=1
	ds_load_b32 v19, v19
	s_wait_dscnt 0x0
	global_store_b32 v18, v19, s[10:11] scale_offset
	s_wait_xcnt 0x0
	s_or_b32 exec_lo, exec_lo, s0
	s_and_saveexec_b32 s0, s30
	s_cbranch_execz .LBB7_78
.LBB7_87:                               ;   in Loop: Header=BB7_12 Depth=1
	s_and_not1_b32 vcc_lo, exec_lo, s17
	s_cbranch_vccnz .LBB7_95
; %bb.88:                               ;   in Loop: Header=BB7_12 Depth=1
	v_add_nc_u32_e32 v18, v17, v4
	s_delay_alu instid0(VALU_DEP_1)
	v_mad_u32 v18, v18, s19, v1
	v_mov_b32_e32 v19, v11
	s_cbranch_execnz .LBB7_90
.LBB7_89:                               ;   in Loop: Header=BB7_12 Depth=1
	v_dual_mov_b32 v19, v7 :: v_dual_add_nc_u32 v18, v16, v4
.LBB7_90:                               ;   in Loop: Header=BB7_12 Depth=1
	ds_load_b32 v19, v19
	s_wait_dscnt 0x0
	global_store_b32 v18, v19, s[10:11] scale_offset
	s_wait_xcnt 0x0
	s_or_b32 exec_lo, exec_lo, s0
	s_and_saveexec_b32 s0, s31
	s_cbranch_execz .LBB7_10
.LBB7_91:                               ;   in Loop: Header=BB7_12 Depth=1
	s_and_not1_b32 vcc_lo, exec_lo, s17
	s_cbranch_vccnz .LBB7_96
; %bb.92:                               ;   in Loop: Header=BB7_12 Depth=1
	v_add_nc_u32_e32 v17, v17, v5
	s_delay_alu instid0(VALU_DEP_1)
	v_mad_u32 v17, v17, s19, v1
	v_mov_b32_e32 v18, v12
	s_cbranch_execnz .LBB7_9
	s_branch .LBB7_97
.LBB7_93:                               ;   in Loop: Header=BB7_12 Depth=1
                                        ; implicit-def: $vgpr18
	v_mov_b32_e32 v19, v9
	s_branch .LBB7_81
.LBB7_94:                               ;   in Loop: Header=BB7_12 Depth=1
                                        ; implicit-def: $vgpr18
	v_mov_b32_e32 v19, v10
	s_branch .LBB7_85
.LBB7_95:                               ;   in Loop: Header=BB7_12 Depth=1
                                        ; implicit-def: $vgpr18
	v_mov_b32_e32 v19, v11
	s_branch .LBB7_89
.LBB7_96:                               ;   in Loop: Header=BB7_12 Depth=1
                                        ; implicit-def: $vgpr17
	v_mov_b32_e32 v18, v12
.LBB7_97:                               ;   in Loop: Header=BB7_12 Depth=1
	v_add_nc_u32_e32 v17, v16, v5
	v_mov_b32_e32 v18, v8
	s_branch .LBB7_9
.LBB7_98:
	s_endpgm
	.section	.rodata,"a",@progbits
	.p2align	6, 0x0
	.amdhsa_kernel _ZN9rocsparseL39bsrgeam_block_per_row_multipass_kernel2ILj256ELj32EfEEv20rocsparse_direction_iiiNS_24const_host_device_scalarIT1_EEPKiS6_PKS3_S4_S6_S6_S8_S6_PiPS3_21rocsparse_index_base_SB_SB_b
		.amdhsa_group_segment_fixed_size 4100
		.amdhsa_private_segment_fixed_size 0
		.amdhsa_kernarg_size 120
		.amdhsa_user_sgpr_count 2
		.amdhsa_user_sgpr_dispatch_ptr 0
		.amdhsa_user_sgpr_queue_ptr 0
		.amdhsa_user_sgpr_kernarg_segment_ptr 1
		.amdhsa_user_sgpr_dispatch_id 0
		.amdhsa_user_sgpr_kernarg_preload_length 0
		.amdhsa_user_sgpr_kernarg_preload_offset 0
		.amdhsa_user_sgpr_private_segment_size 0
		.amdhsa_wavefront_size32 1
		.amdhsa_uses_dynamic_stack 0
		.amdhsa_enable_private_segment 0
		.amdhsa_system_sgpr_workgroup_id_x 1
		.amdhsa_system_sgpr_workgroup_id_y 0
		.amdhsa_system_sgpr_workgroup_id_z 0
		.amdhsa_system_sgpr_workgroup_info 0
		.amdhsa_system_vgpr_workitem_id 0
		.amdhsa_next_free_vgpr 23
		.amdhsa_next_free_sgpr 39
		.amdhsa_named_barrier_count 0
		.amdhsa_reserve_vcc 1
		.amdhsa_float_round_mode_32 0
		.amdhsa_float_round_mode_16_64 0
		.amdhsa_float_denorm_mode_32 3
		.amdhsa_float_denorm_mode_16_64 3
		.amdhsa_fp16_overflow 0
		.amdhsa_memory_ordered 1
		.amdhsa_forward_progress 1
		.amdhsa_inst_pref_size 20
		.amdhsa_round_robin_scheduling 0
		.amdhsa_exception_fp_ieee_invalid_op 0
		.amdhsa_exception_fp_denorm_src 0
		.amdhsa_exception_fp_ieee_div_zero 0
		.amdhsa_exception_fp_ieee_overflow 0
		.amdhsa_exception_fp_ieee_underflow 0
		.amdhsa_exception_fp_ieee_inexact 0
		.amdhsa_exception_int_div_zero 0
	.end_amdhsa_kernel
	.section	.text._ZN9rocsparseL39bsrgeam_block_per_row_multipass_kernel2ILj256ELj32EfEEv20rocsparse_direction_iiiNS_24const_host_device_scalarIT1_EEPKiS6_PKS3_S4_S6_S6_S8_S6_PiPS3_21rocsparse_index_base_SB_SB_b,"axG",@progbits,_ZN9rocsparseL39bsrgeam_block_per_row_multipass_kernel2ILj256ELj32EfEEv20rocsparse_direction_iiiNS_24const_host_device_scalarIT1_EEPKiS6_PKS3_S4_S6_S6_S8_S6_PiPS3_21rocsparse_index_base_SB_SB_b,comdat
.Lfunc_end7:
	.size	_ZN9rocsparseL39bsrgeam_block_per_row_multipass_kernel2ILj256ELj32EfEEv20rocsparse_direction_iiiNS_24const_host_device_scalarIT1_EEPKiS6_PKS3_S4_S6_S6_S8_S6_PiPS3_21rocsparse_index_base_SB_SB_b, .Lfunc_end7-_ZN9rocsparseL39bsrgeam_block_per_row_multipass_kernel2ILj256ELj32EfEEv20rocsparse_direction_iiiNS_24const_host_device_scalarIT1_EEPKiS6_PKS3_S4_S6_S6_S8_S6_PiPS3_21rocsparse_index_base_SB_SB_b
                                        ; -- End function
	.set _ZN9rocsparseL39bsrgeam_block_per_row_multipass_kernel2ILj256ELj32EfEEv20rocsparse_direction_iiiNS_24const_host_device_scalarIT1_EEPKiS6_PKS3_S4_S6_S6_S8_S6_PiPS3_21rocsparse_index_base_SB_SB_b.num_vgpr, 23
	.set _ZN9rocsparseL39bsrgeam_block_per_row_multipass_kernel2ILj256ELj32EfEEv20rocsparse_direction_iiiNS_24const_host_device_scalarIT1_EEPKiS6_PKS3_S4_S6_S6_S8_S6_PiPS3_21rocsparse_index_base_SB_SB_b.num_agpr, 0
	.set _ZN9rocsparseL39bsrgeam_block_per_row_multipass_kernel2ILj256ELj32EfEEv20rocsparse_direction_iiiNS_24const_host_device_scalarIT1_EEPKiS6_PKS3_S4_S6_S6_S8_S6_PiPS3_21rocsparse_index_base_SB_SB_b.numbered_sgpr, 39
	.set _ZN9rocsparseL39bsrgeam_block_per_row_multipass_kernel2ILj256ELj32EfEEv20rocsparse_direction_iiiNS_24const_host_device_scalarIT1_EEPKiS6_PKS3_S4_S6_S6_S8_S6_PiPS3_21rocsparse_index_base_SB_SB_b.num_named_barrier, 0
	.set _ZN9rocsparseL39bsrgeam_block_per_row_multipass_kernel2ILj256ELj32EfEEv20rocsparse_direction_iiiNS_24const_host_device_scalarIT1_EEPKiS6_PKS3_S4_S6_S6_S8_S6_PiPS3_21rocsparse_index_base_SB_SB_b.private_seg_size, 0
	.set _ZN9rocsparseL39bsrgeam_block_per_row_multipass_kernel2ILj256ELj32EfEEv20rocsparse_direction_iiiNS_24const_host_device_scalarIT1_EEPKiS6_PKS3_S4_S6_S6_S8_S6_PiPS3_21rocsparse_index_base_SB_SB_b.uses_vcc, 1
	.set _ZN9rocsparseL39bsrgeam_block_per_row_multipass_kernel2ILj256ELj32EfEEv20rocsparse_direction_iiiNS_24const_host_device_scalarIT1_EEPKiS6_PKS3_S4_S6_S6_S8_S6_PiPS3_21rocsparse_index_base_SB_SB_b.uses_flat_scratch, 0
	.set _ZN9rocsparseL39bsrgeam_block_per_row_multipass_kernel2ILj256ELj32EfEEv20rocsparse_direction_iiiNS_24const_host_device_scalarIT1_EEPKiS6_PKS3_S4_S6_S6_S8_S6_PiPS3_21rocsparse_index_base_SB_SB_b.has_dyn_sized_stack, 0
	.set _ZN9rocsparseL39bsrgeam_block_per_row_multipass_kernel2ILj256ELj32EfEEv20rocsparse_direction_iiiNS_24const_host_device_scalarIT1_EEPKiS6_PKS3_S4_S6_S6_S8_S6_PiPS3_21rocsparse_index_base_SB_SB_b.has_recursion, 0
	.set _ZN9rocsparseL39bsrgeam_block_per_row_multipass_kernel2ILj256ELj32EfEEv20rocsparse_direction_iiiNS_24const_host_device_scalarIT1_EEPKiS6_PKS3_S4_S6_S6_S8_S6_PiPS3_21rocsparse_index_base_SB_SB_b.has_indirect_call, 0
	.section	.AMDGPU.csdata,"",@progbits
; Kernel info:
; codeLenInByte = 2548
; TotalNumSgprs: 41
; NumVgprs: 23
; ScratchSize: 0
; MemoryBound: 0
; FloatMode: 240
; IeeeMode: 1
; LDSByteSize: 4100 bytes/workgroup (compile time only)
; SGPRBlocks: 0
; VGPRBlocks: 1
; NumSGPRsForWavesPerEU: 41
; NumVGPRsForWavesPerEU: 23
; NamedBarCnt: 0
; Occupancy: 16
; WaveLimiterHint : 1
; COMPUTE_PGM_RSRC2:SCRATCH_EN: 0
; COMPUTE_PGM_RSRC2:USER_SGPR: 2
; COMPUTE_PGM_RSRC2:TRAP_HANDLER: 0
; COMPUTE_PGM_RSRC2:TGID_X_EN: 1
; COMPUTE_PGM_RSRC2:TGID_Y_EN: 0
; COMPUTE_PGM_RSRC2:TGID_Z_EN: 0
; COMPUTE_PGM_RSRC2:TIDIG_COMP_CNT: 0
	.section	.text._ZN9rocsparseL39bsrgeam_wf_per_row_multipass_2_3_kernelILj256ELj2ELj32EdEEv20rocsparse_direction_iiiNS_24const_host_device_scalarIT2_EEPKiS6_PKS3_S4_S6_S6_S8_S6_PiPS3_21rocsparse_index_base_SB_SB_b,"axG",@progbits,_ZN9rocsparseL39bsrgeam_wf_per_row_multipass_2_3_kernelILj256ELj2ELj32EdEEv20rocsparse_direction_iiiNS_24const_host_device_scalarIT2_EEPKiS6_PKS3_S4_S6_S6_S8_S6_PiPS3_21rocsparse_index_base_SB_SB_b,comdat
	.globl	_ZN9rocsparseL39bsrgeam_wf_per_row_multipass_2_3_kernelILj256ELj2ELj32EdEEv20rocsparse_direction_iiiNS_24const_host_device_scalarIT2_EEPKiS6_PKS3_S4_S6_S6_S8_S6_PiPS3_21rocsparse_index_base_SB_SB_b ; -- Begin function _ZN9rocsparseL39bsrgeam_wf_per_row_multipass_2_3_kernelILj256ELj2ELj32EdEEv20rocsparse_direction_iiiNS_24const_host_device_scalarIT2_EEPKiS6_PKS3_S4_S6_S6_S8_S6_PiPS3_21rocsparse_index_base_SB_SB_b
	.p2align	8
	.type	_ZN9rocsparseL39bsrgeam_wf_per_row_multipass_2_3_kernelILj256ELj2ELj32EdEEv20rocsparse_direction_iiiNS_24const_host_device_scalarIT2_EEPKiS6_PKS3_S4_S6_S6_S8_S6_PiPS3_21rocsparse_index_base_SB_SB_b,@function
_ZN9rocsparseL39bsrgeam_wf_per_row_multipass_2_3_kernelILj256ELj2ELj32EdEEv20rocsparse_direction_iiiNS_24const_host_device_scalarIT2_EEPKiS6_PKS3_S4_S6_S6_S8_S6_PiPS3_21rocsparse_index_base_SB_SB_b: ; @_ZN9rocsparseL39bsrgeam_wf_per_row_multipass_2_3_kernelILj256ELj2ELj32EdEEv20rocsparse_direction_iiiNS_24const_host_device_scalarIT2_EEPKiS6_PKS3_S4_S6_S6_S8_S6_PiPS3_21rocsparse_index_base_SB_SB_b
; %bb.0:
	s_clause 0x2
	s_load_b128 s[4:7], s[0:1], 0x68
	s_load_b64 s[8:9], s[0:1], 0x10
	s_load_b64 s[2:3], s[0:1], 0x30
	s_wait_kmcnt 0x0
	s_bitcmp1_b32 s7, 0
	v_mov_b64_e32 v[8:9], s[8:9]
	s_cselect_b32 s7, -1, 0
	s_delay_alu instid0(SALU_CYCLE_1)
	s_and_b32 vcc_lo, exec_lo, s7
	s_xor_b32 s7, s7, -1
	s_cbranch_vccnz .LBB8_2
; %bb.1:
	v_mov_b32_e32 v1, 0
	flat_load_b64 v[8:9], v1, s[8:9]
.LBB8_2:
	v_mov_b64_e32 v[10:11], s[2:3]
	s_and_not1_b32 vcc_lo, exec_lo, s7
	s_cbranch_vccnz .LBB8_4
; %bb.3:
	s_wait_xcnt 0x0
	v_mov_b32_e32 v1, 0
	flat_load_b64 v[10:11], v1, s[2:3]
.LBB8_4:
	s_load_b96 s[24:26], s[0:1], 0x0
	s_bfe_u32 s2, ttmp6, 0x4000c
	s_and_b32 s3, ttmp6, 15
	s_add_co_i32 s2, s2, 1
	s_getreg_b32 s7, hwreg(HW_REG_IB_STS2, 6, 4)
	s_mul_i32 s2, ttmp9, s2
	v_lshrrev_b32_e32 v1, 5, v0
	s_add_co_i32 s3, s3, s2
	s_cmp_eq_u32 s7, 0
	s_cselect_b32 s2, ttmp9, s3
	s_delay_alu instid0(SALU_CYCLE_1) | instskip(NEXT) | instid1(SALU_CYCLE_1)
	s_lshl_b32 s2, s2, 3
	v_and_or_b32 v7, 0x7fffff8, s2, v1
	s_mov_b32 s2, exec_lo
	s_wait_kmcnt 0x0
	s_delay_alu instid0(VALU_DEP_1)
	v_cmpx_gt_i32_e64 s25, v7
	s_cbranch_execz .LBB8_39
; %bb.5:
	s_clause 0x2
	s_load_b128 s[8:11], s[0:1], 0x18
	s_load_b128 s[12:15], s[0:1], 0x38
	s_load_b64 s[2:3], s[0:1], 0x50
	v_lshlrev_b32_e32 v12, 2, v7
	s_wait_kmcnt 0x0
	s_clause 0x1
	global_load_b64 v[2:3], v12, s[8:9]
	global_load_b64 v[4:5], v12, s[12:13]
	global_load_b32 v6, v7, s[2:3] scale_offset
	s_wait_loadcnt 0x2
	s_wait_xcnt 0x0
	v_subrev_nc_u32_e32 v7, s4, v2
	v_cmp_lt_i32_e32 vcc_lo, v2, v3
	v_mov_b32_e32 v2, s26
	s_and_saveexec_b32 s2, vcc_lo
	s_cbranch_execz .LBB8_7
; %bb.6:
	global_load_b32 v2, v7, s[10:11] scale_offset
	s_wait_loadcnt 0x0
	v_subrev_nc_u32_e32 v2, s4, v2
.LBB8_7:
	s_or_b32 exec_lo, exec_lo, s2
	s_clause 0x2
	s_load_b128 s[16:19], s[0:1], 0x58
	s_load_b64 s[2:3], s[0:1], 0x28
	s_load_b64 s[8:9], s[0:1], 0x48
	s_wait_loadcnt 0x1
	v_subrev_nc_u32_e32 v12, s5, v4
	v_cmp_lt_i32_e32 vcc_lo, v4, v5
	v_mov_b32_e32 v4, s26
	s_wait_xcnt 0x0
	s_and_saveexec_b32 s0, vcc_lo
	s_cbranch_execz .LBB8_9
; %bb.8:
	global_load_b32 v4, v12, s[14:15] scale_offset
	s_wait_loadcnt 0x0
	v_subrev_nc_u32_e32 v4, s5, v4
.LBB8_9:
	s_or_b32 exec_lo, exec_lo, s0
	v_dual_lshlrev_b32 v16, 10, v1 :: v_dual_bitop2_b32 v1, 31, v0 bitop3:0x40
	s_delay_alu instid0(VALU_DEP_2) | instskip(SKIP_4) | instid1(VALU_DEP_3)
	v_min_i32_e32 v26, v4, v2
	v_mbcnt_lo_u32_b32 v2, -1, 0
	s_movk_i32 s0, 0xe0
	v_subrev_nc_u32_e32 v18, s4, v3
	v_and_or_b32 v17, v0, s0, 0x2000
	v_dual_add_nc_u32 v22, v12, v1 :: v_dual_bitop2_b32 v3, 16, v2 bitop3:0x14
	v_bitop3_b32 v0, v0, 31, v0 bitop3:0xc
	v_add_nc_u32_e32 v25, s6, v1
	v_subrev_nc_u32_e32 v19, s5, v5
	s_wait_loadcnt 0x0
	v_subrev_nc_u32_e32 v20, s6, v6
	v_cmp_gt_i32_e32 vcc_lo, 32, v3
	v_lshrrev_b32_e64 v24, v0, -1
	v_xor_b32_e32 v0, 8, v2
	v_xor_b32_e32 v4, 4, v2
	s_mov_b32 s20, 0
	v_cndmask_b32_e32 v3, v2, v3, vcc_lo
	s_mov_b32 s21, s20
	v_cmp_gt_i32_e32 vcc_lo, 32, v0
	v_xor_b32_e32 v5, 2, v2
	s_mov_b32 s22, s20
	s_mov_b32 s23, s20
	v_dual_cndmask_b32 v0, v2, v0 :: v_dual_add_nc_u32 v21, v7, v1
	v_cmp_gt_i32_e32 vcc_lo, 32, v4
	v_xor_b32_e32 v6, 1, v2
	v_lshl_or_b32 v23, v1, 5, v16
	s_delay_alu instid0(VALU_DEP_4)
	v_dual_lshlrev_b32 v27, 2, v3 :: v_dual_lshlrev_b32 v28, 2, v0
	v_cndmask_b32_e32 v4, v2, v4, vcc_lo
	v_cmp_gt_i32_e32 vcc_lo, 32, v5
	s_cmp_lg_u32 s24, 0
	v_dual_mov_b32 v13, 0 :: v_dual_mov_b32 v33, 1
	s_cselect_b32 s1, -1, 0
	v_cndmask_b32_e32 v5, v2, v5, vcc_lo
	v_cmp_gt_i32_e32 vcc_lo, 32, v6
	s_cmp_eq_u32 s24, 0
	v_add_nc_u32_e32 v32, v17, v1
	s_cselect_b32 s6, 8, 16
	s_cselect_b32 s7, 16, 8
	v_dual_cndmask_b32 v2, v2, v6 :: v_dual_lshlrev_b32 v29, 2, v4
	s_delay_alu instid0(VALU_DEP_1)
	v_dual_lshlrev_b32 v30, 2, v5 :: v_dual_lshlrev_b32 v31, 2, v2
	v_mov_b64_e32 v[0:1], s[20:21]
	v_mov_b64_e32 v[2:3], s[22:23]
	s_branch .LBB8_11
.LBB8_10:                               ;   in Loop: Header=BB8_11 Depth=1
	s_wait_xcnt 0x0
	s_or_b32 exec_lo, exec_lo, s12
	ds_bpermute_b32 v4, v27, v34
	s_bcnt1_i32_b32 s12, vcc_lo
	s_wait_dscnt 0x0
	v_dual_add_nc_u32 v20, s12, v20 :: v_dual_min_i32 v4, v4, v34
	ds_bpermute_b32 v5, v28, v4
	s_wait_dscnt 0x0
	v_min_i32_e32 v4, v5, v4
	ds_bpermute_b32 v5, v29, v4
	s_wait_dscnt 0x0
	v_min_i32_e32 v4, v5, v4
	;; [unrolled: 3-line block ×4, first 2 shown]
	s_delay_alu instid0(VALU_DEP_1) | instskip(SKIP_1) | instid1(SALU_CYCLE_1)
	v_cmp_le_i32_e64 s0, s26, v26
	s_or_b32 s20, s0, s20
	s_and_not1_b32 exec_lo, exec_lo, s20
	s_cbranch_execz .LBB8_39
.LBB8_11:                               ; =>This Loop Header: Depth=1
                                        ;     Child Loop BB8_14 Depth 2
                                        ;     Child Loop BB8_27 Depth 2
	v_mov_b32_e32 v34, s26
	s_mov_b32 s12, exec_lo
	ds_store_b8 v32, v13
	ds_store_b128 v23, v[0:3]
	ds_store_b128 v23, v[0:3] offset:16
	s_wait_dscnt 0x0
	v_cmpx_lt_i32_e64 v21, v18
	s_cbranch_execz .LBB8_24
; %bb.12:                               ;   in Loop: Header=BB8_11 Depth=1
	v_dual_lshlrev_b32 v12, 2, v21 :: v_dual_mov_b32 v34, s26
	s_mov_b32 s13, 0
	s_branch .LBB8_14
.LBB8_13:                               ;   in Loop: Header=BB8_14 Depth=2
	s_or_b32 exec_lo, exec_lo, s22
	s_delay_alu instid0(SALU_CYCLE_1) | instskip(NEXT) | instid1(SALU_CYCLE_1)
	s_and_b32 s0, exec_lo, s21
	s_or_b32 s13, s0, s13
	s_delay_alu instid0(SALU_CYCLE_1)
	s_and_not1_b32 exec_lo, exec_lo, s13
	s_cbranch_execz .LBB8_23
.LBB8_14:                               ;   Parent Loop BB8_11 Depth=1
                                        ; =>  This Inner Loop Header: Depth=2
	global_load_b32 v4, v21, s[10:11] scale_offset
	s_mov_b32 s21, exec_lo
	s_wait_loadcnt 0x0
	v_subrev_nc_u32_e32 v5, s4, v4
	s_delay_alu instid0(VALU_DEP_1) | instskip(NEXT) | instid1(VALU_DEP_1)
	v_sub_nc_u32_e32 v4, v5, v26
	v_cmp_gt_u32_e64 s0, 32, v4
	s_wait_xcnt 0x0
	v_cmpx_lt_u32_e32 31, v4
	s_xor_b32 s21, exec_lo, s21
; %bb.15:                               ;   in Loop: Header=BB8_14 Depth=2
	v_min_i32_e32 v34, v5, v34
                                        ; implicit-def: $vgpr4
; %bb.16:                               ;   in Loop: Header=BB8_14 Depth=2
	s_and_not1_saveexec_b32 s21, s21
	s_cbranch_execz .LBB8_21
; %bb.17:                               ;   in Loop: Header=BB8_14 Depth=2
	s_wait_kmcnt 0x0
	global_load_b64 v[6:7], v12, s[2:3] scale_offset
	s_mov_b32 s22, -1
	s_and_not1_b32 vcc_lo, exec_lo, s1
	s_wait_loadcnt 0x0
	v_dual_mul_f64 v[14:15], v[8:9], v[6:7] :: v_dual_lshlrev_b32 v5, 5, v4
	s_delay_alu instid0(VALU_DEP_1)
	v_dual_add_nc_u32 v7, v17, v4 :: v_dual_add_nc_u32 v6, v16, v5
	v_lshl_add_u64 v[4:5], v[12:13], 3, s[2:3]
	ds_store_b8 v7, v33
	ds_store_b64 v6, v[14:15]
	s_cbranch_vccnz .LBB8_19
; %bb.18:                               ;   in Loop: Header=BB8_14 Depth=2
	s_clause 0x1
	global_load_b128 v[36:39], v[4:5], off offset:8
	global_load_b64 v[14:15], v[4:5], off offset:24
	s_mov_b32 s22, 0
	s_wait_loadcnt 0x1
	v_mul_f64_e32 v[38:39], v[8:9], v[38:39]
	v_mul_f64_e32 v[36:37], v[8:9], v[36:37]
	s_wait_loadcnt 0x0
	v_mul_f64_e32 v[14:15], v[8:9], v[14:15]
	ds_store_2addr_b64 v6, v[38:39], v[36:37] offset0:1 offset1:2
	ds_store_b64 v6, v[14:15] offset:24
.LBB8_19:                               ;   in Loop: Header=BB8_14 Depth=2
	s_and_not1_b32 vcc_lo, exec_lo, s22
	s_cbranch_vccnz .LBB8_21
; %bb.20:                               ;   in Loop: Header=BB8_14 Depth=2
	s_clause 0x1
	global_load_b128 v[36:39], v[4:5], off offset:8
	global_load_b64 v[14:15], v[4:5], off offset:24
	s_wait_loadcnt 0x1
	s_wait_xcnt 0x0
	v_mul_f64_e32 v[4:5], v[8:9], v[36:37]
	v_mul_f64_e32 v[36:37], v[8:9], v[38:39]
	s_wait_loadcnt 0x0
	v_mul_f64_e32 v[14:15], v[8:9], v[14:15]
	ds_store_2addr_b64 v6, v[4:5], v[36:37] offset0:1 offset1:2
	ds_store_b64 v6, v[14:15] offset:24
.LBB8_21:                               ;   in Loop: Header=BB8_14 Depth=2
	s_wait_xcnt 0x0
	s_or_b32 exec_lo, exec_lo, s21
	s_mov_b32 s21, -1
	s_and_saveexec_b32 s22, s0
	s_cbranch_execz .LBB8_13
; %bb.22:                               ;   in Loop: Header=BB8_14 Depth=2
	v_add_nc_u32_e32 v21, 32, v21
	v_add_nc_u32_e32 v12, 0x80, v12
	s_delay_alu instid0(VALU_DEP_2)
	v_cmp_ge_i32_e32 vcc_lo, v21, v18
	s_or_not1_b32 s21, vcc_lo, exec_lo
	s_branch .LBB8_13
.LBB8_23:                               ;   in Loop: Header=BB8_11 Depth=1
	s_or_b32 exec_lo, exec_lo, s13
.LBB8_24:                               ;   in Loop: Header=BB8_11 Depth=1
	s_delay_alu instid0(SALU_CYCLE_1) | instskip(NEXT) | instid1(SALU_CYCLE_1)
	s_or_b32 exec_lo, exec_lo, s12
	s_mov_b32 s12, exec_lo
	s_wait_dscnt 0x0
	v_cmpx_lt_i32_e64 v22, v19
	s_cbranch_execz .LBB8_37
; %bb.25:                               ;   in Loop: Header=BB8_11 Depth=1
	v_lshlrev_b32_e32 v12, 2, v22
	s_mov_b32 s13, 0
	s_branch .LBB8_27
.LBB8_26:                               ;   in Loop: Header=BB8_27 Depth=2
	s_or_b32 exec_lo, exec_lo, s22
	s_delay_alu instid0(SALU_CYCLE_1) | instskip(NEXT) | instid1(SALU_CYCLE_1)
	s_and_b32 s0, exec_lo, s21
	s_or_b32 s13, s0, s13
	s_delay_alu instid0(SALU_CYCLE_1)
	s_and_not1_b32 exec_lo, exec_lo, s13
	s_cbranch_execz .LBB8_36
.LBB8_27:                               ;   Parent Loop BB8_11 Depth=1
                                        ; =>  This Inner Loop Header: Depth=2
	global_load_b32 v4, v22, s[14:15] scale_offset
	s_mov_b32 s21, exec_lo
	s_wait_loadcnt 0x0
	v_subrev_nc_u32_e32 v4, s5, v4
	s_delay_alu instid0(VALU_DEP_1) | instskip(NEXT) | instid1(VALU_DEP_1)
	v_sub_nc_u32_e32 v14, v4, v26
	v_cmp_gt_u32_e64 s0, 32, v14
	s_wait_xcnt 0x0
	v_cmpx_lt_u32_e32 31, v14
	s_xor_b32 s21, exec_lo, s21
; %bb.28:                               ;   in Loop: Header=BB8_27 Depth=2
	v_min_i32_e32 v34, v4, v34
                                        ; implicit-def: $vgpr14
; %bb.29:                               ;   in Loop: Header=BB8_27 Depth=2
	s_and_not1_saveexec_b32 s21, s21
	s_cbranch_execz .LBB8_34
; %bb.30:                               ;   in Loop: Header=BB8_27 Depth=2
	s_wait_kmcnt 0x0
	global_load_b64 v[36:37], v12, s[8:9] scale_offset
	v_lshlrev_b32_e32 v4, 5, v14
	s_mov_b32 s22, -1
	s_and_not1_b32 vcc_lo, exec_lo, s1
	s_delay_alu instid0(VALU_DEP_1)
	v_add_nc_u32_e32 v35, v16, v4
	ds_load_b128 v[4:7], v35
	s_wait_loadcnt_dscnt 0x0
	v_fmac_f64_e32 v[4:5], v[10:11], v[36:37]
	v_add_nc_u32_e32 v36, v17, v14
	v_lshl_add_u64 v[14:15], v[12:13], 3, s[8:9]
	ds_store_b8 v36, v33
	ds_store_b64 v35, v[4:5]
	s_cbranch_vccnz .LBB8_32
; %bb.31:                               ;   in Loop: Header=BB8_27 Depth=2
	s_clause 0x1
	global_load_b128 v[36:39], v[14:15], off offset:8
	global_load_b64 v[4:5], v[14:15], off offset:24
	ds_load_b128 v[40:43], v35 offset:16
	s_mov_b32 s22, 0
	s_wait_loadcnt_dscnt 0x100
	v_fmac_f64_e32 v[40:41], v[10:11], v[36:37]
	v_fma_f64 v[36:37], v[10:11], v[38:39], v[6:7]
	s_wait_loadcnt 0x0
	v_fmac_f64_e32 v[42:43], v[10:11], v[4:5]
	s_delay_alu instid0(VALU_DEP_3)
	v_dual_mov_b32 v4, v40 :: v_dual_mov_b32 v5, v41
	ds_store_2addr_b64 v35, v[36:37], v[4:5] offset0:1 offset1:2
	ds_store_b64 v35, v[42:43] offset:24
.LBB8_32:                               ;   in Loop: Header=BB8_27 Depth=2
	s_and_not1_b32 vcc_lo, exec_lo, s22
	s_cbranch_vccnz .LBB8_34
; %bb.33:                               ;   in Loop: Header=BB8_27 Depth=2
	s_clause 0x1
	global_load_b128 v[36:39], v[14:15], off offset:8
	global_load_b64 v[4:5], v[14:15], off offset:24
	ds_load_b128 v[40:43], v35 offset:16
	s_wait_loadcnt 0x1
	v_fmac_f64_e32 v[6:7], v[10:11], v[36:37]
	s_wait_dscnt 0x0
	v_fmac_f64_e32 v[40:41], v[10:11], v[38:39]
	s_wait_loadcnt 0x0
	v_fmac_f64_e32 v[42:43], v[10:11], v[4:5]
	s_delay_alu instid0(VALU_DEP_3) | instskip(NEXT) | instid1(VALU_DEP_3)
	v_dual_mov_b32 v4, v6 :: v_dual_mov_b32 v5, v7
	v_dual_mov_b32 v6, v40 :: v_dual_mov_b32 v7, v41
	ds_store_2addr_b64 v35, v[4:5], v[6:7] offset0:1 offset1:2
	ds_store_b64 v35, v[42:43] offset:24
.LBB8_34:                               ;   in Loop: Header=BB8_27 Depth=2
	s_wait_xcnt 0x0
	s_or_b32 exec_lo, exec_lo, s21
	s_mov_b32 s21, -1
	s_and_saveexec_b32 s22, s0
	s_cbranch_execz .LBB8_26
; %bb.35:                               ;   in Loop: Header=BB8_27 Depth=2
	v_add_nc_u32_e32 v22, 32, v22
	v_add_nc_u32_e32 v12, 0x80, v12
	s_delay_alu instid0(VALU_DEP_2)
	v_cmp_ge_i32_e32 vcc_lo, v22, v19
	s_or_not1_b32 s21, vcc_lo, exec_lo
	s_branch .LBB8_26
.LBB8_36:                               ;   in Loop: Header=BB8_11 Depth=1
	s_or_b32 exec_lo, exec_lo, s13
.LBB8_37:                               ;   in Loop: Header=BB8_11 Depth=1
	s_delay_alu instid0(SALU_CYCLE_1)
	s_or_b32 exec_lo, exec_lo, s12
	s_wait_dscnt 0x0
	ds_load_u8 v4, v32
	s_mov_b32 s12, exec_lo
	s_wait_dscnt 0x0
	v_and_b32_e32 v5, 1, v4
	v_cmp_ne_u16_e32 vcc_lo, 0, v4
	s_delay_alu instid0(VALU_DEP_2)
	v_cmpx_eq_u32_e32 1, v5
	s_cbranch_execz .LBB8_10
; %bb.38:                               ;   in Loop: Header=BB8_11 Depth=1
	ds_load_2addr_b64 v[4:7], v23 offset1:3
	v_dual_add_nc_u32 v14, s6, v23 :: v_dual_bitop2_b32 v12, vcc_lo, v24 bitop3:0x40
	v_dual_add_nc_u32 v15, s7, v23 :: v_dual_add_nc_u32 v26, v25, v26
	s_delay_alu instid0(VALU_DEP_2) | instskip(NEXT) | instid1(VALU_DEP_1)
	v_bcnt_u32_b32 v12, v12, 0
	v_add3_u32 v35, v20, v12, -1
	s_wait_dscnt 0x0
	s_delay_alu instid0(VALU_DEP_1)
	v_dual_mov_b32 v37, v5 :: v_dual_lshlrev_b32 v12, 2, v35
	v_mov_b32_e32 v36, v4
	ds_load_b64 v[38:39], v14
	ds_load_b64 v[4:5], v15
	s_wait_kmcnt 0x0
	v_lshl_add_u64 v[14:15], v[12:13], 3, s[18:19]
	global_store_b32 v35, v26, s[16:17] scale_offset
	s_wait_dscnt 0x1
	global_store_b128 v[14:15], v[36:39], off
	s_wait_dscnt 0x0
	global_store_b128 v[14:15], v[4:7], off offset:16
	s_branch .LBB8_10
.LBB8_39:
	s_endpgm
	.section	.rodata,"a",@progbits
	.p2align	6, 0x0
	.amdhsa_kernel _ZN9rocsparseL39bsrgeam_wf_per_row_multipass_2_3_kernelILj256ELj2ELj32EdEEv20rocsparse_direction_iiiNS_24const_host_device_scalarIT2_EEPKiS6_PKS3_S4_S6_S6_S8_S6_PiPS3_21rocsparse_index_base_SB_SB_b
		.amdhsa_group_segment_fixed_size 8448
		.amdhsa_private_segment_fixed_size 0
		.amdhsa_kernarg_size 120
		.amdhsa_user_sgpr_count 2
		.amdhsa_user_sgpr_dispatch_ptr 0
		.amdhsa_user_sgpr_queue_ptr 0
		.amdhsa_user_sgpr_kernarg_segment_ptr 1
		.amdhsa_user_sgpr_dispatch_id 0
		.amdhsa_user_sgpr_kernarg_preload_length 0
		.amdhsa_user_sgpr_kernarg_preload_offset 0
		.amdhsa_user_sgpr_private_segment_size 0
		.amdhsa_wavefront_size32 1
		.amdhsa_uses_dynamic_stack 0
		.amdhsa_enable_private_segment 0
		.amdhsa_system_sgpr_workgroup_id_x 1
		.amdhsa_system_sgpr_workgroup_id_y 0
		.amdhsa_system_sgpr_workgroup_id_z 0
		.amdhsa_system_sgpr_workgroup_info 0
		.amdhsa_system_vgpr_workitem_id 0
		.amdhsa_next_free_vgpr 44
		.amdhsa_next_free_sgpr 27
		.amdhsa_named_barrier_count 0
		.amdhsa_reserve_vcc 1
		.amdhsa_float_round_mode_32 0
		.amdhsa_float_round_mode_16_64 0
		.amdhsa_float_denorm_mode_32 3
		.amdhsa_float_denorm_mode_16_64 3
		.amdhsa_fp16_overflow 0
		.amdhsa_memory_ordered 1
		.amdhsa_forward_progress 1
		.amdhsa_inst_pref_size 15
		.amdhsa_round_robin_scheduling 0
		.amdhsa_exception_fp_ieee_invalid_op 0
		.amdhsa_exception_fp_denorm_src 0
		.amdhsa_exception_fp_ieee_div_zero 0
		.amdhsa_exception_fp_ieee_overflow 0
		.amdhsa_exception_fp_ieee_underflow 0
		.amdhsa_exception_fp_ieee_inexact 0
		.amdhsa_exception_int_div_zero 0
	.end_amdhsa_kernel
	.section	.text._ZN9rocsparseL39bsrgeam_wf_per_row_multipass_2_3_kernelILj256ELj2ELj32EdEEv20rocsparse_direction_iiiNS_24const_host_device_scalarIT2_EEPKiS6_PKS3_S4_S6_S6_S8_S6_PiPS3_21rocsparse_index_base_SB_SB_b,"axG",@progbits,_ZN9rocsparseL39bsrgeam_wf_per_row_multipass_2_3_kernelILj256ELj2ELj32EdEEv20rocsparse_direction_iiiNS_24const_host_device_scalarIT2_EEPKiS6_PKS3_S4_S6_S6_S8_S6_PiPS3_21rocsparse_index_base_SB_SB_b,comdat
.Lfunc_end8:
	.size	_ZN9rocsparseL39bsrgeam_wf_per_row_multipass_2_3_kernelILj256ELj2ELj32EdEEv20rocsparse_direction_iiiNS_24const_host_device_scalarIT2_EEPKiS6_PKS3_S4_S6_S6_S8_S6_PiPS3_21rocsparse_index_base_SB_SB_b, .Lfunc_end8-_ZN9rocsparseL39bsrgeam_wf_per_row_multipass_2_3_kernelILj256ELj2ELj32EdEEv20rocsparse_direction_iiiNS_24const_host_device_scalarIT2_EEPKiS6_PKS3_S4_S6_S6_S8_S6_PiPS3_21rocsparse_index_base_SB_SB_b
                                        ; -- End function
	.set _ZN9rocsparseL39bsrgeam_wf_per_row_multipass_2_3_kernelILj256ELj2ELj32EdEEv20rocsparse_direction_iiiNS_24const_host_device_scalarIT2_EEPKiS6_PKS3_S4_S6_S6_S8_S6_PiPS3_21rocsparse_index_base_SB_SB_b.num_vgpr, 44
	.set _ZN9rocsparseL39bsrgeam_wf_per_row_multipass_2_3_kernelILj256ELj2ELj32EdEEv20rocsparse_direction_iiiNS_24const_host_device_scalarIT2_EEPKiS6_PKS3_S4_S6_S6_S8_S6_PiPS3_21rocsparse_index_base_SB_SB_b.num_agpr, 0
	.set _ZN9rocsparseL39bsrgeam_wf_per_row_multipass_2_3_kernelILj256ELj2ELj32EdEEv20rocsparse_direction_iiiNS_24const_host_device_scalarIT2_EEPKiS6_PKS3_S4_S6_S6_S8_S6_PiPS3_21rocsparse_index_base_SB_SB_b.numbered_sgpr, 27
	.set _ZN9rocsparseL39bsrgeam_wf_per_row_multipass_2_3_kernelILj256ELj2ELj32EdEEv20rocsparse_direction_iiiNS_24const_host_device_scalarIT2_EEPKiS6_PKS3_S4_S6_S6_S8_S6_PiPS3_21rocsparse_index_base_SB_SB_b.num_named_barrier, 0
	.set _ZN9rocsparseL39bsrgeam_wf_per_row_multipass_2_3_kernelILj256ELj2ELj32EdEEv20rocsparse_direction_iiiNS_24const_host_device_scalarIT2_EEPKiS6_PKS3_S4_S6_S6_S8_S6_PiPS3_21rocsparse_index_base_SB_SB_b.private_seg_size, 0
	.set _ZN9rocsparseL39bsrgeam_wf_per_row_multipass_2_3_kernelILj256ELj2ELj32EdEEv20rocsparse_direction_iiiNS_24const_host_device_scalarIT2_EEPKiS6_PKS3_S4_S6_S6_S8_S6_PiPS3_21rocsparse_index_base_SB_SB_b.uses_vcc, 1
	.set _ZN9rocsparseL39bsrgeam_wf_per_row_multipass_2_3_kernelILj256ELj2ELj32EdEEv20rocsparse_direction_iiiNS_24const_host_device_scalarIT2_EEPKiS6_PKS3_S4_S6_S6_S8_S6_PiPS3_21rocsparse_index_base_SB_SB_b.uses_flat_scratch, 0
	.set _ZN9rocsparseL39bsrgeam_wf_per_row_multipass_2_3_kernelILj256ELj2ELj32EdEEv20rocsparse_direction_iiiNS_24const_host_device_scalarIT2_EEPKiS6_PKS3_S4_S6_S6_S8_S6_PiPS3_21rocsparse_index_base_SB_SB_b.has_dyn_sized_stack, 0
	.set _ZN9rocsparseL39bsrgeam_wf_per_row_multipass_2_3_kernelILj256ELj2ELj32EdEEv20rocsparse_direction_iiiNS_24const_host_device_scalarIT2_EEPKiS6_PKS3_S4_S6_S6_S8_S6_PiPS3_21rocsparse_index_base_SB_SB_b.has_recursion, 0
	.set _ZN9rocsparseL39bsrgeam_wf_per_row_multipass_2_3_kernelILj256ELj2ELj32EdEEv20rocsparse_direction_iiiNS_24const_host_device_scalarIT2_EEPKiS6_PKS3_S4_S6_S6_S8_S6_PiPS3_21rocsparse_index_base_SB_SB_b.has_indirect_call, 0
	.section	.AMDGPU.csdata,"",@progbits
; Kernel info:
; codeLenInByte = 1896
; TotalNumSgprs: 29
; NumVgprs: 44
; ScratchSize: 0
; MemoryBound: 0
; FloatMode: 240
; IeeeMode: 1
; LDSByteSize: 8448 bytes/workgroup (compile time only)
; SGPRBlocks: 0
; VGPRBlocks: 2
; NumSGPRsForWavesPerEU: 29
; NumVGPRsForWavesPerEU: 44
; NamedBarCnt: 0
; Occupancy: 16
; WaveLimiterHint : 1
; COMPUTE_PGM_RSRC2:SCRATCH_EN: 0
; COMPUTE_PGM_RSRC2:USER_SGPR: 2
; COMPUTE_PGM_RSRC2:TRAP_HANDLER: 0
; COMPUTE_PGM_RSRC2:TGID_X_EN: 1
; COMPUTE_PGM_RSRC2:TGID_Y_EN: 0
; COMPUTE_PGM_RSRC2:TGID_Z_EN: 0
; COMPUTE_PGM_RSRC2:TIDIG_COMP_CNT: 0
	.section	.text._ZN9rocsparseL39bsrgeam_wf_per_row_multipass_2_3_kernelILj256ELj2ELj64EdEEv20rocsparse_direction_iiiNS_24const_host_device_scalarIT2_EEPKiS6_PKS3_S4_S6_S6_S8_S6_PiPS3_21rocsparse_index_base_SB_SB_b,"axG",@progbits,_ZN9rocsparseL39bsrgeam_wf_per_row_multipass_2_3_kernelILj256ELj2ELj64EdEEv20rocsparse_direction_iiiNS_24const_host_device_scalarIT2_EEPKiS6_PKS3_S4_S6_S6_S8_S6_PiPS3_21rocsparse_index_base_SB_SB_b,comdat
	.globl	_ZN9rocsparseL39bsrgeam_wf_per_row_multipass_2_3_kernelILj256ELj2ELj64EdEEv20rocsparse_direction_iiiNS_24const_host_device_scalarIT2_EEPKiS6_PKS3_S4_S6_S6_S8_S6_PiPS3_21rocsparse_index_base_SB_SB_b ; -- Begin function _ZN9rocsparseL39bsrgeam_wf_per_row_multipass_2_3_kernelILj256ELj2ELj64EdEEv20rocsparse_direction_iiiNS_24const_host_device_scalarIT2_EEPKiS6_PKS3_S4_S6_S6_S8_S6_PiPS3_21rocsparse_index_base_SB_SB_b
	.p2align	8
	.type	_ZN9rocsparseL39bsrgeam_wf_per_row_multipass_2_3_kernelILj256ELj2ELj64EdEEv20rocsparse_direction_iiiNS_24const_host_device_scalarIT2_EEPKiS6_PKS3_S4_S6_S6_S8_S6_PiPS3_21rocsparse_index_base_SB_SB_b,@function
_ZN9rocsparseL39bsrgeam_wf_per_row_multipass_2_3_kernelILj256ELj2ELj64EdEEv20rocsparse_direction_iiiNS_24const_host_device_scalarIT2_EEPKiS6_PKS3_S4_S6_S6_S8_S6_PiPS3_21rocsparse_index_base_SB_SB_b: ; @_ZN9rocsparseL39bsrgeam_wf_per_row_multipass_2_3_kernelILj256ELj2ELj64EdEEv20rocsparse_direction_iiiNS_24const_host_device_scalarIT2_EEPKiS6_PKS3_S4_S6_S6_S8_S6_PiPS3_21rocsparse_index_base_SB_SB_b
; %bb.0:
	s_clause 0x2
	s_load_b128 s[4:7], s[0:1], 0x68
	s_load_b64 s[8:9], s[0:1], 0x10
	s_load_b64 s[2:3], s[0:1], 0x30
	s_wait_kmcnt 0x0
	s_bitcmp1_b32 s7, 0
	v_mov_b64_e32 v[8:9], s[8:9]
	s_cselect_b32 s7, -1, 0
	s_delay_alu instid0(SALU_CYCLE_1)
	s_and_b32 vcc_lo, exec_lo, s7
	s_xor_b32 s7, s7, -1
	s_cbranch_vccnz .LBB9_2
; %bb.1:
	v_mov_b32_e32 v1, 0
	flat_load_b64 v[8:9], v1, s[8:9]
.LBB9_2:
	v_mov_b64_e32 v[10:11], s[2:3]
	s_and_not1_b32 vcc_lo, exec_lo, s7
	s_cbranch_vccnz .LBB9_4
; %bb.3:
	s_wait_xcnt 0x0
	v_mov_b32_e32 v1, 0
	flat_load_b64 v[10:11], v1, s[2:3]
.LBB9_4:
	s_load_b96 s[24:26], s[0:1], 0x0
	s_bfe_u32 s2, ttmp6, 0x4000c
	s_and_b32 s3, ttmp6, 15
	s_add_co_i32 s2, s2, 1
	s_getreg_b32 s7, hwreg(HW_REG_IB_STS2, 6, 4)
	s_mul_i32 s2, ttmp9, s2
	v_lshrrev_b32_e32 v1, 6, v0
	s_add_co_i32 s3, s3, s2
	s_cmp_eq_u32 s7, 0
	s_cselect_b32 s2, ttmp9, s3
	s_delay_alu instid0(SALU_CYCLE_1) | instskip(NEXT) | instid1(SALU_CYCLE_1)
	s_lshl_b32 s2, s2, 2
	v_and_or_b32 v6, 0x3fffffc, s2, v1
	s_mov_b32 s2, exec_lo
	s_wait_kmcnt 0x0
	s_delay_alu instid0(VALU_DEP_1)
	v_cmpx_gt_i32_e64 s25, v6
	s_cbranch_execz .LBB9_39
; %bb.5:
	s_clause 0x2
	s_load_b128 s[8:11], s[0:1], 0x18
	s_load_b128 s[12:15], s[0:1], 0x38
	s_load_b64 s[2:3], s[0:1], 0x50
	v_lshlrev_b32_e32 v12, 2, v6
	s_wait_kmcnt 0x0
	s_clause 0x1
	global_load_b64 v[4:5], v12, s[8:9]
	global_load_b64 v[2:3], v12, s[12:13]
	global_load_b32 v7, v6, s[2:3] scale_offset
	s_wait_loadcnt 0x2
	s_wait_xcnt 0x0
	v_subrev_nc_u32_e32 v6, s4, v4
	v_cmp_lt_i32_e32 vcc_lo, v4, v5
	v_mov_b32_e32 v4, s26
	s_and_saveexec_b32 s2, vcc_lo
	s_cbranch_execz .LBB9_7
; %bb.6:
	global_load_b32 v4, v6, s[10:11] scale_offset
	s_wait_loadcnt 0x0
	v_subrev_nc_u32_e32 v4, s4, v4
.LBB9_7:
	s_or_b32 exec_lo, exec_lo, s2
	s_clause 0x2
	s_load_b128 s[16:19], s[0:1], 0x58
	s_load_b64 s[2:3], s[0:1], 0x28
	s_load_b64 s[8:9], s[0:1], 0x48
	s_wait_loadcnt 0x1
	v_subrev_nc_u32_e32 v12, s5, v2
	v_cmp_lt_i32_e32 vcc_lo, v2, v3
	v_mov_b32_e32 v2, s26
	s_wait_xcnt 0x0
	s_and_saveexec_b32 s0, vcc_lo
	s_cbranch_execz .LBB9_9
; %bb.8:
	global_load_b32 v2, v12, s[14:15] scale_offset
	s_wait_loadcnt 0x0
	v_subrev_nc_u32_e32 v2, s5, v2
.LBB9_9:
	s_or_b32 exec_lo, exec_lo, s0
	v_dual_lshlrev_b32 v18, 11, v1 :: v_dual_bitop2_b32 v1, 63, v0 bitop3:0x40
	v_subrev_nc_u32_e32 v21, s5, v3
	v_mbcnt_lo_u32_b32 v3, -1, 0
	v_min_i32_e32 v27, v2, v4
	s_movk_i32 s0, 0xc0
	v_add_nc_u32_e32 v23, v6, v1
	v_and_or_b32 v19, v0, s0, 0x2000
	v_or_b32_e32 v2, 32, v3
	v_bitop3_b32 v0, v0, 63, v0 bitop3:0xc
	v_add_nc_u32_e32 v24, v12, v1
	v_subrev_nc_u32_e32 v20, s4, v5
	s_mov_b32 s20, 0
	v_cmp_gt_i32_e32 vcc_lo, 32, v2
	v_lshrrev_b64 v[12:13], v0, -1
	v_xor_b32_e32 v4, 16, v3
	s_mov_b32 s21, s20
	s_mov_b32 s22, s20
	v_dual_cndmask_b32 v2, v3, v2 :: v_dual_add_nc_u32 v13, s6, v1
	s_delay_alu instid0(VALU_DEP_2) | instskip(SKIP_2) | instid1(VALU_DEP_3)
	v_cmp_gt_i32_e32 vcc_lo, 32, v4
	v_xor_b32_e32 v0, 8, v3
	s_mov_b32 s23, s20
	v_lshlrev_b32_e32 v26, 2, v2
	v_lshl_or_b32 v25, v1, 5, v18
	v_cndmask_b32_e32 v2, v3, v4, vcc_lo
	v_cmp_gt_i32_e32 vcc_lo, 32, v0
	v_dual_add_nc_u32 v33, v19, v1 :: v_dual_bitop2_b32 v4, 4, v3 bitop3:0x14
	v_mov_b32_e32 v15, 0
	s_cmp_lg_u32 s24, 0
	v_cndmask_b32_e32 v0, v3, v0, vcc_lo
	s_delay_alu instid0(VALU_DEP_3)
	v_cmp_gt_i32_e32 vcc_lo, 32, v4
	v_xor_b32_e32 v5, 2, v3
	s_wait_loadcnt 0x0
	v_subrev_nc_u32_e32 v22, s6, v7
	v_mov_b32_e32 v34, 1
	s_cselect_b32 s1, -1, 0
	v_cndmask_b32_e32 v4, v3, v4, vcc_lo
	v_cmp_gt_i32_e32 vcc_lo, 32, v5
	v_dual_lshlrev_b32 v28, 2, v2 :: v_dual_bitop2_b32 v6, 1, v3 bitop3:0x14
	s_cmp_eq_u32 s24, 0
	s_delay_alu instid0(VALU_DEP_3) | instskip(NEXT) | instid1(VALU_DEP_2)
	v_dual_cndmask_b32 v5, v3, v5 :: v_dual_lshlrev_b32 v30, 2, v4
	v_cmp_gt_i32_e32 vcc_lo, 32, v6
	v_lshlrev_b32_e32 v29, 2, v0
	s_cselect_b32 s6, 8, 16
	s_cselect_b32 s7, 16, 8
	v_dual_cndmask_b32 v3, v3, v6, vcc_lo :: v_dual_lshlrev_b32 v31, 2, v5
	s_delay_alu instid0(VALU_DEP_1)
	v_lshlrev_b32_e32 v32, 2, v3
	v_mov_b64_e32 v[0:1], s[20:21]
	v_mov_b64_e32 v[2:3], s[22:23]
	s_branch .LBB9_11
.LBB9_10:                               ;   in Loop: Header=BB9_11 Depth=1
	s_wait_xcnt 0x0
	s_or_b32 exec_lo, exec_lo, s12
	ds_bpermute_b32 v4, v26, v35
	s_bcnt1_i32_b32 s12, vcc_lo
	s_wait_dscnt 0x0
	v_dual_add_nc_u32 v22, s12, v22 :: v_dual_min_i32 v4, v4, v35
	ds_bpermute_b32 v5, v28, v4
	s_wait_dscnt 0x0
	v_min_i32_e32 v4, v5, v4
	ds_bpermute_b32 v5, v29, v4
	s_wait_dscnt 0x0
	v_min_i32_e32 v4, v5, v4
	;; [unrolled: 3-line block ×5, first 2 shown]
	s_delay_alu instid0(VALU_DEP_1) | instskip(SKIP_1) | instid1(SALU_CYCLE_1)
	v_cmp_le_i32_e64 s0, s26, v27
	s_or_b32 s20, s0, s20
	s_and_not1_b32 exec_lo, exec_lo, s20
	s_cbranch_execz .LBB9_39
.LBB9_11:                               ; =>This Loop Header: Depth=1
                                        ;     Child Loop BB9_14 Depth 2
                                        ;     Child Loop BB9_27 Depth 2
	v_mov_b32_e32 v35, s26
	s_mov_b32 s12, exec_lo
	ds_store_b8 v33, v15
	ds_store_b128 v25, v[0:3]
	ds_store_b128 v25, v[0:3] offset:16
	s_wait_dscnt 0x0
	v_cmpx_lt_i32_e64 v23, v20
	s_cbranch_execz .LBB9_24
; %bb.12:                               ;   in Loop: Header=BB9_11 Depth=1
	v_dual_mov_b32 v35, s26 :: v_dual_lshlrev_b32 v14, 2, v23
	s_mov_b32 s13, 0
	s_branch .LBB9_14
.LBB9_13:                               ;   in Loop: Header=BB9_14 Depth=2
	s_or_b32 exec_lo, exec_lo, s22
	s_delay_alu instid0(SALU_CYCLE_1) | instskip(NEXT) | instid1(SALU_CYCLE_1)
	s_and_b32 s0, exec_lo, s21
	s_or_b32 s13, s0, s13
	s_delay_alu instid0(SALU_CYCLE_1)
	s_and_not1_b32 exec_lo, exec_lo, s13
	s_cbranch_execz .LBB9_23
.LBB9_14:                               ;   Parent Loop BB9_11 Depth=1
                                        ; =>  This Inner Loop Header: Depth=2
	global_load_b32 v4, v23, s[10:11] scale_offset
	s_mov_b32 s21, exec_lo
	s_wait_loadcnt 0x0
	v_subrev_nc_u32_e32 v5, s4, v4
	s_delay_alu instid0(VALU_DEP_1) | instskip(NEXT) | instid1(VALU_DEP_1)
	v_sub_nc_u32_e32 v4, v5, v27
	v_cmp_gt_u32_e64 s0, 64, v4
	s_wait_xcnt 0x0
	v_cmpx_lt_u32_e32 63, v4
	s_xor_b32 s21, exec_lo, s21
; %bb.15:                               ;   in Loop: Header=BB9_14 Depth=2
	v_min_i32_e32 v35, v5, v35
                                        ; implicit-def: $vgpr4
; %bb.16:                               ;   in Loop: Header=BB9_14 Depth=2
	s_and_not1_saveexec_b32 s21, s21
	s_cbranch_execz .LBB9_21
; %bb.17:                               ;   in Loop: Header=BB9_14 Depth=2
	s_wait_kmcnt 0x0
	global_load_b64 v[6:7], v14, s[2:3] scale_offset
	s_mov_b32 s22, -1
	s_and_not1_b32 vcc_lo, exec_lo, s1
	s_wait_loadcnt 0x0
	v_dual_mul_f64 v[16:17], v[8:9], v[6:7] :: v_dual_lshlrev_b32 v5, 5, v4
	s_delay_alu instid0(VALU_DEP_1)
	v_dual_add_nc_u32 v7, v19, v4 :: v_dual_add_nc_u32 v6, v18, v5
	v_lshl_add_u64 v[4:5], v[14:15], 3, s[2:3]
	ds_store_b8 v7, v34
	ds_store_b64 v6, v[16:17]
	s_cbranch_vccnz .LBB9_19
; %bb.18:                               ;   in Loop: Header=BB9_14 Depth=2
	s_clause 0x1
	global_load_b128 v[36:39], v[4:5], off offset:8
	global_load_b64 v[16:17], v[4:5], off offset:24
	s_mov_b32 s22, 0
	s_wait_loadcnt 0x1
	v_mul_f64_e32 v[38:39], v[8:9], v[38:39]
	v_mul_f64_e32 v[36:37], v[8:9], v[36:37]
	s_wait_loadcnt 0x0
	v_mul_f64_e32 v[16:17], v[8:9], v[16:17]
	ds_store_2addr_b64 v6, v[38:39], v[36:37] offset0:1 offset1:2
	ds_store_b64 v6, v[16:17] offset:24
.LBB9_19:                               ;   in Loop: Header=BB9_14 Depth=2
	s_and_not1_b32 vcc_lo, exec_lo, s22
	s_cbranch_vccnz .LBB9_21
; %bb.20:                               ;   in Loop: Header=BB9_14 Depth=2
	s_clause 0x1
	global_load_b128 v[36:39], v[4:5], off offset:8
	global_load_b64 v[16:17], v[4:5], off offset:24
	s_wait_loadcnt 0x1
	s_wait_xcnt 0x0
	v_mul_f64_e32 v[4:5], v[8:9], v[36:37]
	v_mul_f64_e32 v[36:37], v[8:9], v[38:39]
	s_wait_loadcnt 0x0
	v_mul_f64_e32 v[16:17], v[8:9], v[16:17]
	ds_store_2addr_b64 v6, v[4:5], v[36:37] offset0:1 offset1:2
	ds_store_b64 v6, v[16:17] offset:24
.LBB9_21:                               ;   in Loop: Header=BB9_14 Depth=2
	s_wait_xcnt 0x0
	s_or_b32 exec_lo, exec_lo, s21
	s_mov_b32 s21, -1
	s_and_saveexec_b32 s22, s0
	s_cbranch_execz .LBB9_13
; %bb.22:                               ;   in Loop: Header=BB9_14 Depth=2
	v_add_nc_u32_e32 v23, 64, v23
	v_add_nc_u32_e32 v14, 0x100, v14
	s_delay_alu instid0(VALU_DEP_2)
	v_cmp_ge_i32_e32 vcc_lo, v23, v20
	s_or_not1_b32 s21, vcc_lo, exec_lo
	s_branch .LBB9_13
.LBB9_23:                               ;   in Loop: Header=BB9_11 Depth=1
	s_or_b32 exec_lo, exec_lo, s13
.LBB9_24:                               ;   in Loop: Header=BB9_11 Depth=1
	s_delay_alu instid0(SALU_CYCLE_1) | instskip(NEXT) | instid1(SALU_CYCLE_1)
	s_or_b32 exec_lo, exec_lo, s12
	s_mov_b32 s12, exec_lo
	s_wait_dscnt 0x0
	v_cmpx_lt_i32_e64 v24, v21
	s_cbranch_execz .LBB9_37
; %bb.25:                               ;   in Loop: Header=BB9_11 Depth=1
	v_lshlrev_b32_e32 v14, 2, v24
	s_mov_b32 s13, 0
	s_branch .LBB9_27
.LBB9_26:                               ;   in Loop: Header=BB9_27 Depth=2
	s_or_b32 exec_lo, exec_lo, s22
	s_delay_alu instid0(SALU_CYCLE_1) | instskip(NEXT) | instid1(SALU_CYCLE_1)
	s_and_b32 s0, exec_lo, s21
	s_or_b32 s13, s0, s13
	s_delay_alu instid0(SALU_CYCLE_1)
	s_and_not1_b32 exec_lo, exec_lo, s13
	s_cbranch_execz .LBB9_36
.LBB9_27:                               ;   Parent Loop BB9_11 Depth=1
                                        ; =>  This Inner Loop Header: Depth=2
	global_load_b32 v4, v24, s[14:15] scale_offset
	s_mov_b32 s21, exec_lo
	s_wait_loadcnt 0x0
	v_subrev_nc_u32_e32 v4, s5, v4
	s_delay_alu instid0(VALU_DEP_1) | instskip(NEXT) | instid1(VALU_DEP_1)
	v_sub_nc_u32_e32 v16, v4, v27
	v_cmp_gt_u32_e64 s0, 64, v16
	s_wait_xcnt 0x0
	v_cmpx_lt_u32_e32 63, v16
	s_xor_b32 s21, exec_lo, s21
; %bb.28:                               ;   in Loop: Header=BB9_27 Depth=2
	v_min_i32_e32 v35, v4, v35
                                        ; implicit-def: $vgpr16
; %bb.29:                               ;   in Loop: Header=BB9_27 Depth=2
	s_and_not1_saveexec_b32 s21, s21
	s_cbranch_execz .LBB9_34
; %bb.30:                               ;   in Loop: Header=BB9_27 Depth=2
	s_wait_kmcnt 0x0
	global_load_b64 v[38:39], v14, s[8:9] scale_offset
	v_dual_lshlrev_b32 v4, 5, v16 :: v_dual_add_nc_u32 v37, v19, v16
	v_lshl_add_u64 v[16:17], v[14:15], 3, s[8:9]
	s_mov_b32 s22, -1
	s_and_not1_b32 vcc_lo, exec_lo, s1
	s_delay_alu instid0(VALU_DEP_2)
	v_add_nc_u32_e32 v36, v18, v4
	ds_load_b128 v[4:7], v36
	s_wait_loadcnt_dscnt 0x0
	v_fmac_f64_e32 v[4:5], v[10:11], v[38:39]
	ds_store_b8 v37, v34
	ds_store_b64 v36, v[4:5]
	s_cbranch_vccnz .LBB9_32
; %bb.31:                               ;   in Loop: Header=BB9_27 Depth=2
	s_clause 0x1
	global_load_b128 v[38:41], v[16:17], off offset:8
	global_load_b64 v[4:5], v[16:17], off offset:24
	ds_load_b128 v[42:45], v36 offset:16
	s_mov_b32 s22, 0
	s_wait_loadcnt_dscnt 0x100
	v_fmac_f64_e32 v[42:43], v[10:11], v[38:39]
	v_fma_f64 v[38:39], v[10:11], v[40:41], v[6:7]
	s_wait_loadcnt 0x0
	v_fmac_f64_e32 v[44:45], v[10:11], v[4:5]
	s_delay_alu instid0(VALU_DEP_3)
	v_dual_mov_b32 v4, v42 :: v_dual_mov_b32 v5, v43
	ds_store_2addr_b64 v36, v[38:39], v[4:5] offset0:1 offset1:2
	ds_store_b64 v36, v[44:45] offset:24
.LBB9_32:                               ;   in Loop: Header=BB9_27 Depth=2
	s_and_not1_b32 vcc_lo, exec_lo, s22
	s_cbranch_vccnz .LBB9_34
; %bb.33:                               ;   in Loop: Header=BB9_27 Depth=2
	s_clause 0x1
	global_load_b128 v[38:41], v[16:17], off offset:8
	global_load_b64 v[4:5], v[16:17], off offset:24
	ds_load_b128 v[42:45], v36 offset:16
	s_wait_loadcnt 0x1
	v_fmac_f64_e32 v[6:7], v[10:11], v[38:39]
	s_wait_dscnt 0x0
	v_fmac_f64_e32 v[42:43], v[10:11], v[40:41]
	s_wait_loadcnt 0x0
	v_fmac_f64_e32 v[44:45], v[10:11], v[4:5]
	s_delay_alu instid0(VALU_DEP_3) | instskip(NEXT) | instid1(VALU_DEP_3)
	v_dual_mov_b32 v4, v6 :: v_dual_mov_b32 v5, v7
	v_dual_mov_b32 v6, v42 :: v_dual_mov_b32 v7, v43
	ds_store_2addr_b64 v36, v[4:5], v[6:7] offset0:1 offset1:2
	ds_store_b64 v36, v[44:45] offset:24
.LBB9_34:                               ;   in Loop: Header=BB9_27 Depth=2
	s_wait_xcnt 0x0
	s_or_b32 exec_lo, exec_lo, s21
	s_mov_b32 s21, -1
	s_and_saveexec_b32 s22, s0
	s_cbranch_execz .LBB9_26
; %bb.35:                               ;   in Loop: Header=BB9_27 Depth=2
	v_add_nc_u32_e32 v24, 64, v24
	v_add_nc_u32_e32 v14, 0x100, v14
	s_delay_alu instid0(VALU_DEP_2)
	v_cmp_ge_i32_e32 vcc_lo, v24, v21
	s_or_not1_b32 s21, vcc_lo, exec_lo
	s_branch .LBB9_26
.LBB9_36:                               ;   in Loop: Header=BB9_11 Depth=1
	s_or_b32 exec_lo, exec_lo, s13
.LBB9_37:                               ;   in Loop: Header=BB9_11 Depth=1
	s_delay_alu instid0(SALU_CYCLE_1)
	s_or_b32 exec_lo, exec_lo, s12
	s_wait_dscnt 0x0
	ds_load_u8 v4, v33
	s_mov_b32 s12, exec_lo
	s_wait_dscnt 0x0
	v_and_b32_e32 v5, 1, v4
	v_cmp_ne_u16_e32 vcc_lo, 0, v4
	s_delay_alu instid0(VALU_DEP_2)
	v_cmpx_eq_u32_e32 1, v5
	s_cbranch_execz .LBB9_10
; %bb.38:                               ;   in Loop: Header=BB9_11 Depth=1
	ds_load_2addr_b64 v[4:7], v25 offset1:3
	v_dual_add_nc_u32 v16, s6, v25 :: v_dual_bitop2_b32 v14, vcc_lo, v12 bitop3:0x40
	v_dual_add_nc_u32 v17, s7, v25 :: v_dual_add_nc_u32 v27, v13, v27
	s_delay_alu instid0(VALU_DEP_2) | instskip(NEXT) | instid1(VALU_DEP_1)
	v_bcnt_u32_b32 v14, v14, 0
	v_add3_u32 v40, v22, v14, -1
	s_wait_dscnt 0x0
	s_delay_alu instid0(VALU_DEP_1)
	v_dual_mov_b32 v37, v5 :: v_dual_lshlrev_b32 v14, 2, v40
	v_mov_b32_e32 v36, v4
	ds_load_b64 v[38:39], v16
	ds_load_b64 v[4:5], v17
	s_wait_kmcnt 0x0
	v_lshl_add_u64 v[16:17], v[14:15], 3, s[18:19]
	global_store_b32 v40, v27, s[16:17] scale_offset
	s_wait_dscnt 0x1
	global_store_b128 v[16:17], v[36:39], off
	s_wait_dscnt 0x0
	global_store_b128 v[16:17], v[4:7], off offset:16
	s_branch .LBB9_10
.LBB9_39:
	s_endpgm
	.section	.rodata,"a",@progbits
	.p2align	6, 0x0
	.amdhsa_kernel _ZN9rocsparseL39bsrgeam_wf_per_row_multipass_2_3_kernelILj256ELj2ELj64EdEEv20rocsparse_direction_iiiNS_24const_host_device_scalarIT2_EEPKiS6_PKS3_S4_S6_S6_S8_S6_PiPS3_21rocsparse_index_base_SB_SB_b
		.amdhsa_group_segment_fixed_size 8448
		.amdhsa_private_segment_fixed_size 0
		.amdhsa_kernarg_size 120
		.amdhsa_user_sgpr_count 2
		.amdhsa_user_sgpr_dispatch_ptr 0
		.amdhsa_user_sgpr_queue_ptr 0
		.amdhsa_user_sgpr_kernarg_segment_ptr 1
		.amdhsa_user_sgpr_dispatch_id 0
		.amdhsa_user_sgpr_kernarg_preload_length 0
		.amdhsa_user_sgpr_kernarg_preload_offset 0
		.amdhsa_user_sgpr_private_segment_size 0
		.amdhsa_wavefront_size32 1
		.amdhsa_uses_dynamic_stack 0
		.amdhsa_enable_private_segment 0
		.amdhsa_system_sgpr_workgroup_id_x 1
		.amdhsa_system_sgpr_workgroup_id_y 0
		.amdhsa_system_sgpr_workgroup_id_z 0
		.amdhsa_system_sgpr_workgroup_info 0
		.amdhsa_system_vgpr_workitem_id 0
		.amdhsa_next_free_vgpr 46
		.amdhsa_next_free_sgpr 27
		.amdhsa_named_barrier_count 0
		.amdhsa_reserve_vcc 1
		.amdhsa_float_round_mode_32 0
		.amdhsa_float_round_mode_16_64 0
		.amdhsa_float_denorm_mode_32 3
		.amdhsa_float_denorm_mode_16_64 3
		.amdhsa_fp16_overflow 0
		.amdhsa_memory_ordered 1
		.amdhsa_forward_progress 1
		.amdhsa_inst_pref_size 16
		.amdhsa_round_robin_scheduling 0
		.amdhsa_exception_fp_ieee_invalid_op 0
		.amdhsa_exception_fp_denorm_src 0
		.amdhsa_exception_fp_ieee_div_zero 0
		.amdhsa_exception_fp_ieee_overflow 0
		.amdhsa_exception_fp_ieee_underflow 0
		.amdhsa_exception_fp_ieee_inexact 0
		.amdhsa_exception_int_div_zero 0
	.end_amdhsa_kernel
	.section	.text._ZN9rocsparseL39bsrgeam_wf_per_row_multipass_2_3_kernelILj256ELj2ELj64EdEEv20rocsparse_direction_iiiNS_24const_host_device_scalarIT2_EEPKiS6_PKS3_S4_S6_S6_S8_S6_PiPS3_21rocsparse_index_base_SB_SB_b,"axG",@progbits,_ZN9rocsparseL39bsrgeam_wf_per_row_multipass_2_3_kernelILj256ELj2ELj64EdEEv20rocsparse_direction_iiiNS_24const_host_device_scalarIT2_EEPKiS6_PKS3_S4_S6_S6_S8_S6_PiPS3_21rocsparse_index_base_SB_SB_b,comdat
.Lfunc_end9:
	.size	_ZN9rocsparseL39bsrgeam_wf_per_row_multipass_2_3_kernelILj256ELj2ELj64EdEEv20rocsparse_direction_iiiNS_24const_host_device_scalarIT2_EEPKiS6_PKS3_S4_S6_S6_S8_S6_PiPS3_21rocsparse_index_base_SB_SB_b, .Lfunc_end9-_ZN9rocsparseL39bsrgeam_wf_per_row_multipass_2_3_kernelILj256ELj2ELj64EdEEv20rocsparse_direction_iiiNS_24const_host_device_scalarIT2_EEPKiS6_PKS3_S4_S6_S6_S8_S6_PiPS3_21rocsparse_index_base_SB_SB_b
                                        ; -- End function
	.set _ZN9rocsparseL39bsrgeam_wf_per_row_multipass_2_3_kernelILj256ELj2ELj64EdEEv20rocsparse_direction_iiiNS_24const_host_device_scalarIT2_EEPKiS6_PKS3_S4_S6_S6_S8_S6_PiPS3_21rocsparse_index_base_SB_SB_b.num_vgpr, 46
	.set _ZN9rocsparseL39bsrgeam_wf_per_row_multipass_2_3_kernelILj256ELj2ELj64EdEEv20rocsparse_direction_iiiNS_24const_host_device_scalarIT2_EEPKiS6_PKS3_S4_S6_S6_S8_S6_PiPS3_21rocsparse_index_base_SB_SB_b.num_agpr, 0
	.set _ZN9rocsparseL39bsrgeam_wf_per_row_multipass_2_3_kernelILj256ELj2ELj64EdEEv20rocsparse_direction_iiiNS_24const_host_device_scalarIT2_EEPKiS6_PKS3_S4_S6_S6_S8_S6_PiPS3_21rocsparse_index_base_SB_SB_b.numbered_sgpr, 27
	.set _ZN9rocsparseL39bsrgeam_wf_per_row_multipass_2_3_kernelILj256ELj2ELj64EdEEv20rocsparse_direction_iiiNS_24const_host_device_scalarIT2_EEPKiS6_PKS3_S4_S6_S6_S8_S6_PiPS3_21rocsparse_index_base_SB_SB_b.num_named_barrier, 0
	.set _ZN9rocsparseL39bsrgeam_wf_per_row_multipass_2_3_kernelILj256ELj2ELj64EdEEv20rocsparse_direction_iiiNS_24const_host_device_scalarIT2_EEPKiS6_PKS3_S4_S6_S6_S8_S6_PiPS3_21rocsparse_index_base_SB_SB_b.private_seg_size, 0
	.set _ZN9rocsparseL39bsrgeam_wf_per_row_multipass_2_3_kernelILj256ELj2ELj64EdEEv20rocsparse_direction_iiiNS_24const_host_device_scalarIT2_EEPKiS6_PKS3_S4_S6_S6_S8_S6_PiPS3_21rocsparse_index_base_SB_SB_b.uses_vcc, 1
	.set _ZN9rocsparseL39bsrgeam_wf_per_row_multipass_2_3_kernelILj256ELj2ELj64EdEEv20rocsparse_direction_iiiNS_24const_host_device_scalarIT2_EEPKiS6_PKS3_S4_S6_S6_S8_S6_PiPS3_21rocsparse_index_base_SB_SB_b.uses_flat_scratch, 0
	.set _ZN9rocsparseL39bsrgeam_wf_per_row_multipass_2_3_kernelILj256ELj2ELj64EdEEv20rocsparse_direction_iiiNS_24const_host_device_scalarIT2_EEPKiS6_PKS3_S4_S6_S6_S8_S6_PiPS3_21rocsparse_index_base_SB_SB_b.has_dyn_sized_stack, 0
	.set _ZN9rocsparseL39bsrgeam_wf_per_row_multipass_2_3_kernelILj256ELj2ELj64EdEEv20rocsparse_direction_iiiNS_24const_host_device_scalarIT2_EEPKiS6_PKS3_S4_S6_S6_S8_S6_PiPS3_21rocsparse_index_base_SB_SB_b.has_recursion, 0
	.set _ZN9rocsparseL39bsrgeam_wf_per_row_multipass_2_3_kernelILj256ELj2ELj64EdEEv20rocsparse_direction_iiiNS_24const_host_device_scalarIT2_EEPKiS6_PKS3_S4_S6_S6_S8_S6_PiPS3_21rocsparse_index_base_SB_SB_b.has_indirect_call, 0
	.section	.AMDGPU.csdata,"",@progbits
; Kernel info:
; codeLenInByte = 1928
; TotalNumSgprs: 29
; NumVgprs: 46
; ScratchSize: 0
; MemoryBound: 0
; FloatMode: 240
; IeeeMode: 1
; LDSByteSize: 8448 bytes/workgroup (compile time only)
; SGPRBlocks: 0
; VGPRBlocks: 2
; NumSGPRsForWavesPerEU: 29
; NumVGPRsForWavesPerEU: 46
; NamedBarCnt: 0
; Occupancy: 16
; WaveLimiterHint : 1
; COMPUTE_PGM_RSRC2:SCRATCH_EN: 0
; COMPUTE_PGM_RSRC2:USER_SGPR: 2
; COMPUTE_PGM_RSRC2:TRAP_HANDLER: 0
; COMPUTE_PGM_RSRC2:TGID_X_EN: 1
; COMPUTE_PGM_RSRC2:TGID_Y_EN: 0
; COMPUTE_PGM_RSRC2:TGID_Z_EN: 0
; COMPUTE_PGM_RSRC2:TIDIG_COMP_CNT: 0
	.section	.text._ZN9rocsparseL39bsrgeam_wf_per_row_multipass_2_3_kernelILj256ELj3ELj32EdEEv20rocsparse_direction_iiiNS_24const_host_device_scalarIT2_EEPKiS6_PKS3_S4_S6_S6_S8_S6_PiPS3_21rocsparse_index_base_SB_SB_b,"axG",@progbits,_ZN9rocsparseL39bsrgeam_wf_per_row_multipass_2_3_kernelILj256ELj3ELj32EdEEv20rocsparse_direction_iiiNS_24const_host_device_scalarIT2_EEPKiS6_PKS3_S4_S6_S6_S8_S6_PiPS3_21rocsparse_index_base_SB_SB_b,comdat
	.globl	_ZN9rocsparseL39bsrgeam_wf_per_row_multipass_2_3_kernelILj256ELj3ELj32EdEEv20rocsparse_direction_iiiNS_24const_host_device_scalarIT2_EEPKiS6_PKS3_S4_S6_S6_S8_S6_PiPS3_21rocsparse_index_base_SB_SB_b ; -- Begin function _ZN9rocsparseL39bsrgeam_wf_per_row_multipass_2_3_kernelILj256ELj3ELj32EdEEv20rocsparse_direction_iiiNS_24const_host_device_scalarIT2_EEPKiS6_PKS3_S4_S6_S6_S8_S6_PiPS3_21rocsparse_index_base_SB_SB_b
	.p2align	8
	.type	_ZN9rocsparseL39bsrgeam_wf_per_row_multipass_2_3_kernelILj256ELj3ELj32EdEEv20rocsparse_direction_iiiNS_24const_host_device_scalarIT2_EEPKiS6_PKS3_S4_S6_S6_S8_S6_PiPS3_21rocsparse_index_base_SB_SB_b,@function
_ZN9rocsparseL39bsrgeam_wf_per_row_multipass_2_3_kernelILj256ELj3ELj32EdEEv20rocsparse_direction_iiiNS_24const_host_device_scalarIT2_EEPKiS6_PKS3_S4_S6_S6_S8_S6_PiPS3_21rocsparse_index_base_SB_SB_b: ; @_ZN9rocsparseL39bsrgeam_wf_per_row_multipass_2_3_kernelILj256ELj3ELj32EdEEv20rocsparse_direction_iiiNS_24const_host_device_scalarIT2_EEPKiS6_PKS3_S4_S6_S6_S8_S6_PiPS3_21rocsparse_index_base_SB_SB_b
; %bb.0:
	s_clause 0x2
	s_load_b128 s[4:7], s[0:1], 0x68
	s_load_b64 s[8:9], s[0:1], 0x10
	s_load_b64 s[2:3], s[0:1], 0x30
	s_wait_kmcnt 0x0
	s_bitcmp1_b32 s7, 0
	v_mov_b64_e32 v[4:5], s[8:9]
	s_cselect_b32 s7, -1, 0
	s_delay_alu instid0(SALU_CYCLE_1)
	s_and_b32 vcc_lo, exec_lo, s7
	s_xor_b32 s7, s7, -1
	s_cbranch_vccnz .LBB10_2
; %bb.1:
	v_mov_b32_e32 v1, 0
	flat_load_b64 v[4:5], v1, s[8:9]
.LBB10_2:
	v_mov_b64_e32 v[6:7], s[2:3]
	s_and_not1_b32 vcc_lo, exec_lo, s7
	s_cbranch_vccnz .LBB10_4
; %bb.3:
	s_wait_xcnt 0x0
	v_mov_b32_e32 v1, 0
	flat_load_b64 v[6:7], v1, s[2:3]
.LBB10_4:
	s_load_b96 s[20:22], s[0:1], 0x0
	s_bfe_u32 s2, ttmp6, 0x4000c
	s_and_b32 s3, ttmp6, 15
	s_add_co_i32 s2, s2, 1
	s_getreg_b32 s7, hwreg(HW_REG_IB_STS2, 6, 4)
	s_mul_i32 s2, ttmp9, s2
	v_lshrrev_b32_e32 v1, 5, v0
	s_add_co_i32 s3, s3, s2
	s_cmp_eq_u32 s7, 0
	s_cselect_b32 s2, ttmp9, s3
	s_delay_alu instid0(SALU_CYCLE_1) | instskip(NEXT) | instid1(SALU_CYCLE_1)
	s_lshl_b32 s2, s2, 3
	v_and_or_b32 v11, 0x7fffff8, s2, v1
	s_mov_b32 s2, exec_lo
	s_wait_kmcnt 0x0
	s_delay_alu instid0(VALU_DEP_1)
	v_cmpx_gt_i32_e64 s21, v11
	s_cbranch_execz .LBB10_39
; %bb.5:
	s_clause 0x2
	s_load_b128 s[8:11], s[0:1], 0x18
	s_load_b128 s[12:15], s[0:1], 0x38
	s_load_b64 s[2:3], s[0:1], 0x50
	v_lshlrev_b32_e32 v12, 2, v11
	s_wait_kmcnt 0x0
	s_clause 0x1
	global_load_b64 v[2:3], v12, s[8:9]
	global_load_b64 v[8:9], v12, s[12:13]
	global_load_b32 v10, v11, s[2:3] scale_offset
	s_wait_loadcnt 0x2
	s_wait_xcnt 0x0
	v_subrev_nc_u32_e32 v11, s4, v2
	v_cmp_lt_i32_e32 vcc_lo, v2, v3
	v_mov_b32_e32 v2, s22
	s_and_saveexec_b32 s2, vcc_lo
	s_cbranch_execz .LBB10_7
; %bb.6:
	global_load_b32 v2, v11, s[10:11] scale_offset
	s_wait_loadcnt 0x0
	v_subrev_nc_u32_e32 v2, s4, v2
.LBB10_7:
	s_or_b32 exec_lo, exec_lo, s2
	s_clause 0x2
	s_load_b128 s[16:19], s[0:1], 0x58
	s_load_b64 s[2:3], s[0:1], 0x28
	s_load_b64 s[8:9], s[0:1], 0x48
	s_wait_loadcnt 0x1
	v_subrev_nc_u32_e32 v12, s5, v8
	v_cmp_lt_i32_e32 vcc_lo, v8, v9
	v_mov_b32_e32 v8, s22
	s_wait_xcnt 0x0
	s_and_saveexec_b32 s0, vcc_lo
	s_cbranch_execz .LBB10_9
; %bb.8:
	global_load_b32 v8, v12, s[14:15] scale_offset
	s_wait_loadcnt 0x0
	v_subrev_nc_u32_e32 v8, s5, v8
.LBB10_9:
	s_or_b32 exec_lo, exec_lo, s0
	v_and_b32_e32 v13, 31, v0
	v_subrev_nc_u32_e32 v20, s4, v3
	s_movk_i32 s0, 0xe0
	v_mul_u32_u24_e32 v19, 0x900, v1
	v_and_or_b32 v18, v0, s0, 0x4800
	v_mul_u32_u24_e32 v3, 0x48, v13
	v_bitop3_b32 v0, v0, 31, v0 bitop3:0xc
	v_min_i32_e32 v35, v8, v2
	v_subrev_nc_u32_e32 v21, s5, v9
	s_mov_b32 s12, 0
	v_mad_u32_u24 v25, 0x900, v1, v3
	v_mbcnt_lo_u32_b32 v1, -1, 0
	v_lshrrev_b32_e64 v26, v0, -1
	s_mov_b32 s13, s12
	s_mov_b32 s24, s12
	;; [unrolled: 1-line block ×3, first 2 shown]
	v_xor_b32_e32 v8, 2, v1
	v_xor_b32_e32 v3, 4, v1
	;; [unrolled: 1-line block ×4, first 2 shown]
	s_wait_loadcnt 0x0
	v_subrev_nc_u32_e32 v22, s6, v10
	v_mov_b64_e32 v[14:15], 0
	s_cmp_lg_u32 s20, 0
	v_mov_b32_e32 v34, 1
	v_cmp_gt_i32_e32 vcc_lo, 32, v2
	s_cselect_b32 s1, -1, 0
	s_cmp_eq_u32 s20, 0
	s_cselect_b32 s7, 16, 48
	v_cndmask_b32_e32 v2, v1, v2, vcc_lo
	v_cmp_gt_i32_e32 vcc_lo, 32, v0
	v_dual_add_nc_u32 v23, v11, v13 :: v_dual_add_nc_u32 v24, v12, v13
	s_delay_alu instid0(VALU_DEP_3)
	v_dual_add_nc_u32 v27, s6, v13 :: v_dual_lshlrev_b32 v28, 2, v2
	v_cndmask_b32_e32 v0, v1, v0, vcc_lo
	v_cmp_gt_i32_e32 vcc_lo, 32, v3
	v_xor_b32_e32 v9, 1, v1
	v_add_nc_u32_e32 v33, v18, v13
	v_mov_b64_e32 v[10:11], s[12:13]
	v_dual_lshlrev_b32 v29, 2, v0 :: v_dual_cndmask_b32 v3, v1, v3, vcc_lo
	v_cmp_gt_i32_e32 vcc_lo, 32, v8
	v_mov_b64_e32 v[12:13], s[24:25]
	s_cselect_b32 s6, 8, 24
	s_cselect_b32 s20, 24, 8
	v_dual_lshlrev_b32 v30, 2, v3 :: v_dual_cndmask_b32 v8, v1, v8, vcc_lo
	v_cmp_gt_i32_e32 vcc_lo, 32, v9
	s_cselect_b32 s13, 40, 56
	s_cselect_b32 s21, 48, 16
	;; [unrolled: 1-line block ×3, first 2 shown]
	v_dual_cndmask_b32 v1, v1, v9, vcc_lo :: v_dual_lshlrev_b32 v31, 2, v8
	s_delay_alu instid0(VALU_DEP_1)
	v_dual_mov_b32 v9, 0 :: v_dual_lshlrev_b32 v32, 2, v1
	s_branch .LBB10_11
.LBB10_10:                              ;   in Loop: Header=BB10_11 Depth=1
	s_wait_xcnt 0x0
	s_or_b32 exec_lo, exec_lo, s24
	ds_bpermute_b32 v0, v28, v36
	s_bcnt1_i32_b32 s24, vcc_lo
	s_wait_dscnt 0x0
	v_dual_add_nc_u32 v22, s24, v22 :: v_dual_min_i32 v0, v0, v36
	ds_bpermute_b32 v1, v29, v0
	s_wait_dscnt 0x0
	v_min_i32_e32 v0, v1, v0
	ds_bpermute_b32 v1, v30, v0
	s_wait_dscnt 0x0
	v_min_i32_e32 v0, v1, v0
	;; [unrolled: 3-line block ×4, first 2 shown]
	s_delay_alu instid0(VALU_DEP_1) | instskip(SKIP_1) | instid1(SALU_CYCLE_1)
	v_cmp_le_i32_e64 s0, s22, v35
	s_or_b32 s12, s0, s12
	s_and_not1_b32 exec_lo, exec_lo, s12
	s_cbranch_execz .LBB10_39
.LBB10_11:                              ; =>This Loop Header: Depth=1
                                        ;     Child Loop BB10_14 Depth 2
                                        ;     Child Loop BB10_27 Depth 2
	v_mov_b32_e32 v36, s22
	s_mov_b32 s24, exec_lo
	ds_store_2addr_b64 v25, v[10:11], v[12:13] offset1:1
	ds_store_2addr_b64 v25, v[10:11], v[12:13] offset0:2 offset1:3
	ds_store_2addr_b64 v25, v[10:11], v[12:13] offset0:4 offset1:5
	;; [unrolled: 1-line block ×3, first 2 shown]
	ds_store_b8 v33, v9
	ds_store_b64 v25, v[14:15] offset:64
	s_wait_dscnt 0x0
	v_cmpx_lt_i32_e64 v23, v20
	s_cbranch_execz .LBB10_24
; %bb.12:                               ;   in Loop: Header=BB10_11 Depth=1
	v_mad_u32 v2, v23, 9, 8
	v_mov_b32_e32 v36, s22
	s_mov_b32 s25, 0
	s_branch .LBB10_14
.LBB10_13:                              ;   in Loop: Header=BB10_14 Depth=2
	s_or_b32 exec_lo, exec_lo, s27
	s_delay_alu instid0(SALU_CYCLE_1) | instskip(NEXT) | instid1(SALU_CYCLE_1)
	s_and_b32 s0, exec_lo, s26
	s_or_b32 s25, s0, s25
	s_delay_alu instid0(SALU_CYCLE_1)
	s_and_not1_b32 exec_lo, exec_lo, s25
	s_cbranch_execz .LBB10_23
.LBB10_14:                              ;   Parent Loop BB10_11 Depth=1
                                        ; =>  This Inner Loop Header: Depth=2
	global_load_b32 v0, v23, s[10:11] scale_offset
	s_mov_b32 s26, exec_lo
	s_wait_loadcnt 0x0
	v_subrev_nc_u32_e32 v1, s4, v0
	s_delay_alu instid0(VALU_DEP_1) | instskip(NEXT) | instid1(VALU_DEP_1)
	v_sub_nc_u32_e32 v0, v1, v35
	v_cmp_gt_u32_e64 s0, 32, v0
	s_wait_xcnt 0x0
	v_cmpx_lt_u32_e32 31, v0
	s_xor_b32 s26, exec_lo, s26
; %bb.15:                               ;   in Loop: Header=BB10_14 Depth=2
	v_min_i32_e32 v36, v1, v36
                                        ; implicit-def: $vgpr0
; %bb.16:                               ;   in Loop: Header=BB10_14 Depth=2
	s_and_not1_saveexec_b32 s26, s26
	s_cbranch_execz .LBB10_21
; %bb.17:                               ;   in Loop: Header=BB10_14 Depth=2
	v_dual_add_nc_u32 v1, -8, v2 :: v_dual_add_nc_u32 v8, -4, v2
	v_dual_add_nc_u32 v42, v18, v0 :: v_dual_add_nc_u32 v37, -2, v2
	v_add_nc_u32_e32 v38, -3, v2
	s_wait_kmcnt 0x0
	global_load_b64 v[16:17], v1, s[2:3] scale_offset
	s_wait_xcnt 0x0
	v_mul_lo_u32 v1, 0x48, v0
	s_mov_b32 s27, -1
	s_and_not1_b32 vcc_lo, exec_lo, s1
	s_delay_alu instid0(VALU_DEP_1)
	v_dual_add_nc_u32 v39, -6, v2 :: v_dual_add_nc_u32 v3, v19, v1
	v_lshl_add_u64 v[0:1], v[8:9], 3, s[2:3]
	s_wait_loadcnt 0x0
	v_dual_mul_f64 v[40:41], v[4:5], v[16:17] :: v_dual_add_nc_u32 v8, -5, v2
	v_dual_add_nc_u32 v17, -7, v2 :: v_dual_add_nc_u32 v16, -1, v2
	ds_store_b8 v42, v34
	ds_store_b64 v3, v[40:41]
	s_cbranch_vccnz .LBB10_19
; %bb.18:                               ;   in Loop: Header=BB10_14 Depth=2
	s_clause 0x7
	global_load_b64 v[40:41], v8, s[2:3] scale_offset
	global_load_b64 v[42:43], v37, s[2:3] scale_offset
	;; [unrolled: 1-line block ×3, first 2 shown]
	global_load_b64 v[46:47], v[0:1], off
	global_load_b64 v[48:49], v16, s[2:3] scale_offset
	global_load_b64 v[50:51], v39, s[2:3] scale_offset
	;; [unrolled: 1-line block ×4, first 2 shown]
	s_mov_b32 s27, 0
	s_wait_loadcnt 0x7
	v_mul_f64_e32 v[40:41], v[4:5], v[40:41]
	s_wait_loadcnt 0x6
	v_mul_f64_e32 v[42:43], v[4:5], v[42:43]
	;; [unrolled: 2-line block ×8, first 2 shown]
	ds_store_2addr_b64 v3, v[40:41], v[42:43] offset0:1 offset1:2
	ds_store_2addr_b64 v3, v[44:45], v[46:47] offset0:3 offset1:4
	;; [unrolled: 1-line block ×4, first 2 shown]
.LBB10_19:                              ;   in Loop: Header=BB10_14 Depth=2
	s_and_not1_b32 vcc_lo, exec_lo, s27
	s_cbranch_vccnz .LBB10_21
; %bb.20:                               ;   in Loop: Header=BB10_14 Depth=2
	s_clause 0x7
	global_load_b64 v[40:41], v39, s[2:3] scale_offset
	global_load_b64 v[42:43], v17, s[2:3] scale_offset
	;; [unrolled: 1-line block ×4, first 2 shown]
	global_load_b64 v[48:49], v[0:1], off
	global_load_b64 v[50:51], v38, s[2:3] scale_offset
	global_load_b64 v[52:53], v2, s[2:3] scale_offset
	global_load_b64 v[54:55], v16, s[2:3] scale_offset
	s_wait_loadcnt 0x7
	s_wait_xcnt 0x0
	v_mul_f64_e32 v[16:17], v[4:5], v[40:41]
	s_wait_loadcnt 0x6
	v_mul_f64_e32 v[0:1], v[4:5], v[42:43]
	s_wait_loadcnt 0x5
	;; [unrolled: 2-line block ×7, first 2 shown]
	v_mul_f64_e32 v[46:47], v[4:5], v[54:55]
	ds_store_2addr_b64 v3, v[0:1], v[16:17] offset0:1 offset1:2
	ds_store_2addr_b64 v3, v[38:39], v[40:41] offset0:3 offset1:4
	;; [unrolled: 1-line block ×4, first 2 shown]
.LBB10_21:                              ;   in Loop: Header=BB10_14 Depth=2
	s_wait_xcnt 0x0
	s_or_b32 exec_lo, exec_lo, s26
	s_mov_b32 s26, -1
	s_and_saveexec_b32 s27, s0
	s_cbranch_execz .LBB10_13
; %bb.22:                               ;   in Loop: Header=BB10_14 Depth=2
	v_add_nc_u32_e32 v23, 32, v23
	v_add_nc_u32_e32 v2, 0x120, v2
	s_delay_alu instid0(VALU_DEP_2)
	v_cmp_ge_i32_e32 vcc_lo, v23, v20
	s_or_not1_b32 s26, vcc_lo, exec_lo
	s_branch .LBB10_13
.LBB10_23:                              ;   in Loop: Header=BB10_11 Depth=1
	s_or_b32 exec_lo, exec_lo, s25
.LBB10_24:                              ;   in Loop: Header=BB10_11 Depth=1
	s_delay_alu instid0(SALU_CYCLE_1) | instskip(NEXT) | instid1(SALU_CYCLE_1)
	s_or_b32 exec_lo, exec_lo, s24
	s_mov_b32 s24, exec_lo
	s_wait_dscnt 0x0
	v_cmpx_lt_i32_e64 v24, v21
	s_cbranch_execz .LBB10_37
; %bb.25:                               ;   in Loop: Header=BB10_11 Depth=1
	v_mad_u32 v37, v24, 9, 8
	s_mov_b32 s25, 0
	s_branch .LBB10_27
.LBB10_26:                              ;   in Loop: Header=BB10_27 Depth=2
	s_or_b32 exec_lo, exec_lo, s27
	s_delay_alu instid0(SALU_CYCLE_1) | instskip(NEXT) | instid1(SALU_CYCLE_1)
	s_and_b32 s0, exec_lo, s26
	s_or_b32 s25, s0, s25
	s_delay_alu instid0(SALU_CYCLE_1)
	s_and_not1_b32 exec_lo, exec_lo, s25
	s_cbranch_execz .LBB10_36
.LBB10_27:                              ;   Parent Loop BB10_11 Depth=1
                                        ; =>  This Inner Loop Header: Depth=2
	global_load_b32 v0, v24, s[14:15] scale_offset
	s_mov_b32 s26, exec_lo
	s_wait_loadcnt 0x0
	v_subrev_nc_u32_e32 v0, s5, v0
	s_delay_alu instid0(VALU_DEP_1) | instskip(NEXT) | instid1(VALU_DEP_1)
	v_sub_nc_u32_e32 v16, v0, v35
	v_cmp_gt_u32_e64 s0, 32, v16
	s_wait_xcnt 0x0
	v_cmpx_lt_u32_e32 31, v16
	s_xor_b32 s26, exec_lo, s26
; %bb.28:                               ;   in Loop: Header=BB10_27 Depth=2
	v_min_i32_e32 v36, v0, v36
                                        ; implicit-def: $vgpr16
; %bb.29:                               ;   in Loop: Header=BB10_27 Depth=2
	s_and_not1_saveexec_b32 s26, s26
	s_cbranch_execz .LBB10_34
; %bb.30:                               ;   in Loop: Header=BB10_27 Depth=2
	v_dual_add_nc_u32 v0, -8, v37 :: v_dual_add_nc_u32 v8, -4, v37
	v_dual_add_nc_u32 v44, v18, v16 :: v_dual_add_nc_u32 v39, -2, v37
	s_mov_b32 s27, -1
	s_wait_kmcnt 0x0
	global_load_b64 v[40:41], v0, s[8:9] scale_offset
	s_wait_xcnt 0x0
	v_mul_lo_u32 v0, 0x48, v16
	v_lshl_add_u64 v[16:17], v[8:9], 3, s[8:9]
	v_dual_add_nc_u32 v8, -7, v37 :: v_dual_add_nc_u32 v42, -1, v37
	s_and_not1_b32 vcc_lo, exec_lo, s1
	s_delay_alu instid0(VALU_DEP_3)
	v_dual_add_nc_u32 v43, -3, v37 :: v_dual_add_nc_u32 v38, v19, v0
	ds_load_2addr_b64 v[0:3], v38 offset1:1
	s_wait_loadcnt_dscnt 0x0
	v_fmac_f64_e32 v[0:1], v[6:7], v[40:41]
	v_dual_add_nc_u32 v40, -5, v37 :: v_dual_add_nc_u32 v41, -6, v37
	ds_store_b8 v44, v34
	ds_store_b64 v38, v[0:1]
	s_cbranch_vccnz .LBB10_32
; %bb.31:                               ;   in Loop: Header=BB10_27 Depth=2
	s_clause 0x7
	global_load_b64 v[0:1], v39, s[8:9] scale_offset
	global_load_b64 v[56:57], v8, s[8:9] scale_offset
	global_load_b64 v[58:59], v[16:17], off
	global_load_b64 v[60:61], v42, s[8:9] scale_offset
	global_load_b64 v[62:63], v41, s[8:9] scale_offset
	;; [unrolled: 1-line block ×5, first 2 shown]
	ds_load_2addr_b64 v[44:47], v38 offset0:2 offset1:3
	ds_load_2addr_b64 v[48:51], v38 offset0:4 offset1:5
	ds_load_2addr_b64 v[52:55], v38 offset0:6 offset1:7
	ds_load_b64 v[70:71], v38 offset:64
	s_mov_b32 s27, 0
	s_wait_loadcnt_dscnt 0x703
	v_fmac_f64_e32 v[44:45], v[6:7], v[0:1]
	s_wait_loadcnt 0x6
	v_fmac_f64_e32 v[46:47], v[6:7], v[56:57]
	s_wait_loadcnt_dscnt 0x502
	v_fmac_f64_e32 v[48:49], v[6:7], v[58:59]
	s_wait_loadcnt 0x4
	v_fmac_f64_e32 v[50:51], v[6:7], v[60:61]
	;; [unrolled: 4-line block ×3, first 2 shown]
	s_wait_loadcnt 0x1
	v_fma_f64 v[0:1], v[6:7], v[66:67], v[2:3]
	s_wait_loadcnt_dscnt 0x0
	v_fmac_f64_e32 v[70:71], v[6:7], v[68:69]
	ds_store_2addr_b64 v38, v[0:1], v[44:45] offset0:1 offset1:2
	ds_store_2addr_b64 v38, v[46:47], v[48:49] offset0:3 offset1:4
	;; [unrolled: 1-line block ×4, first 2 shown]
.LBB10_32:                              ;   in Loop: Header=BB10_27 Depth=2
	s_and_not1_b32 vcc_lo, exec_lo, s27
	s_cbranch_vccnz .LBB10_34
; %bb.33:                               ;   in Loop: Header=BB10_27 Depth=2
	s_clause 0x7
	global_load_b64 v[0:1], v8, s[8:9] scale_offset
	global_load_b64 v[52:53], v41, s[8:9] scale_offset
	;; [unrolled: 1-line block ×3, first 2 shown]
	global_load_b64 v[56:57], v[16:17], off
	global_load_b64 v[58:59], v43, s[8:9] scale_offset
	global_load_b64 v[60:61], v42, s[8:9] scale_offset
	;; [unrolled: 1-line block ×4, first 2 shown]
	s_wait_xcnt 0x2
	ds_load_2addr_b64 v[40:43], v38 offset0:2 offset1:3
	ds_load_2addr_b64 v[44:47], v38 offset0:4 offset1:5
	;; [unrolled: 1-line block ×3, first 2 shown]
	ds_load_b64 v[16:17], v38 offset:64
	s_wait_loadcnt 0x7
	v_fmac_f64_e32 v[2:3], v[6:7], v[0:1]
	s_wait_loadcnt_dscnt 0x603
	v_fmac_f64_e32 v[40:41], v[6:7], v[52:53]
	s_wait_loadcnt 0x5
	v_fmac_f64_e32 v[42:43], v[6:7], v[54:55]
	s_wait_loadcnt_dscnt 0x402
	v_fmac_f64_e32 v[44:45], v[6:7], v[56:57]
	;; [unrolled: 4-line block ×4, first 2 shown]
	v_dual_mov_b32 v0, v2 :: v_dual_mov_b32 v1, v3
	v_dual_mov_b32 v2, v40 :: v_dual_mov_b32 v3, v41
	;; [unrolled: 1-line block ×7, first 2 shown]
	ds_store_2addr_b64 v38, v[0:1], v[2:3] offset0:1 offset1:2
	ds_store_2addr_b64 v38, v[40:41], v[42:43] offset0:3 offset1:4
	;; [unrolled: 1-line block ×4, first 2 shown]
.LBB10_34:                              ;   in Loop: Header=BB10_27 Depth=2
	s_wait_xcnt 0x0
	s_or_b32 exec_lo, exec_lo, s26
	s_mov_b32 s26, -1
	s_and_saveexec_b32 s27, s0
	s_cbranch_execz .LBB10_26
; %bb.35:                               ;   in Loop: Header=BB10_27 Depth=2
	v_add_nc_u32_e32 v24, 32, v24
	v_add_nc_u32_e32 v37, 0x120, v37
	s_delay_alu instid0(VALU_DEP_2)
	v_cmp_ge_i32_e32 vcc_lo, v24, v21
	s_or_not1_b32 s26, vcc_lo, exec_lo
	s_branch .LBB10_26
.LBB10_36:                              ;   in Loop: Header=BB10_11 Depth=1
	s_or_b32 exec_lo, exec_lo, s25
.LBB10_37:                              ;   in Loop: Header=BB10_11 Depth=1
	s_delay_alu instid0(SALU_CYCLE_1)
	s_or_b32 exec_lo, exec_lo, s24
	s_wait_dscnt 0x0
	ds_load_u8 v0, v33
	s_mov_b32 s24, exec_lo
	s_wait_dscnt 0x0
	v_and_b32_e32 v1, 1, v0
	v_cmp_ne_u16_e32 vcc_lo, 0, v0
	s_delay_alu instid0(VALU_DEP_2)
	v_cmpx_eq_u32_e32 1, v1
	s_cbranch_execz .LBB10_10
; %bb.38:                               ;   in Loop: Header=BB10_11 Depth=1
	v_dual_add_nc_u32 v16, s6, v25 :: v_dual_add_nc_u32 v37, s7, v25
	v_dual_add_nc_u32 v40, s20, v25 :: v_dual_add_nc_u32 v42, s13, v25
	v_dual_add_nc_u32 v35, v27, v35 :: v_dual_bitop2_b32 v8, vcc_lo, v26 bitop3:0x40
	v_dual_add_nc_u32 v44, s21, v25 :: v_dual_add_nc_u32 v46, s23, v25
	ds_load_2addr_b64 v[0:3], v25 offset1:4
	ds_load_b64 v[16:17], v16
	ds_load_b64 v[38:39], v37
	;; [unrolled: 1-line block ×6, first 2 shown]
	ds_load_b64 v[48:49], v25 offset:64
	v_bcnt_u32_b32 v8, v8, 0
	s_delay_alu instid0(VALU_DEP_1) | instskip(NEXT) | instid1(VALU_DEP_1)
	v_add3_u32 v8, v22, v8, -1
	v_lshl_add_u32 v37, v8, 3, v8
	s_wait_kmcnt 0x0
	global_store_b32 v8, v35, s[16:17] scale_offset
	s_wait_xcnt 0x0
	v_dual_add_nc_u32 v8, 1, v37 :: v_dual_add_nc_u32 v35, 2, v37
	v_dual_add_nc_u32 v50, 3, v37 :: v_dual_add_nc_u32 v51, 4, v37
	v_dual_add_nc_u32 v52, 5, v37 :: v_dual_add_nc_u32 v53, 6, v37
	v_dual_add_nc_u32 v54, 7, v37 :: v_dual_add_nc_u32 v55, 8, v37
	s_wait_dscnt 0x7
	global_store_b64 v37, v[0:1], s[18:19] scale_offset
	s_wait_dscnt 0x6
	global_store_b64 v8, v[16:17], s[18:19] scale_offset
	s_wait_dscnt 0x5
	global_store_b64 v35, v[38:39], s[18:19] scale_offset
	s_wait_dscnt 0x4
	s_clause 0x1
	global_store_b64 v50, v[40:41], s[18:19] scale_offset
	global_store_b64 v51, v[2:3], s[18:19] scale_offset
	s_wait_dscnt 0x3
	global_store_b64 v52, v[42:43], s[18:19] scale_offset
	s_wait_dscnt 0x2
	global_store_b64 v53, v[44:45], s[18:19] scale_offset
	s_wait_dscnt 0x1
	global_store_b64 v54, v[46:47], s[18:19] scale_offset
	s_wait_dscnt 0x0
	global_store_b64 v55, v[48:49], s[18:19] scale_offset
	s_branch .LBB10_10
.LBB10_39:
	s_sendmsg sendmsg(MSG_DEALLOC_VGPRS)
	s_endpgm
	.section	.rodata,"a",@progbits
	.p2align	6, 0x0
	.amdhsa_kernel _ZN9rocsparseL39bsrgeam_wf_per_row_multipass_2_3_kernelILj256ELj3ELj32EdEEv20rocsparse_direction_iiiNS_24const_host_device_scalarIT2_EEPKiS6_PKS3_S4_S6_S6_S8_S6_PiPS3_21rocsparse_index_base_SB_SB_b
		.amdhsa_group_segment_fixed_size 18688
		.amdhsa_private_segment_fixed_size 0
		.amdhsa_kernarg_size 120
		.amdhsa_user_sgpr_count 2
		.amdhsa_user_sgpr_dispatch_ptr 0
		.amdhsa_user_sgpr_queue_ptr 0
		.amdhsa_user_sgpr_kernarg_segment_ptr 1
		.amdhsa_user_sgpr_dispatch_id 0
		.amdhsa_user_sgpr_kernarg_preload_length 0
		.amdhsa_user_sgpr_kernarg_preload_offset 0
		.amdhsa_user_sgpr_private_segment_size 0
		.amdhsa_wavefront_size32 1
		.amdhsa_uses_dynamic_stack 0
		.amdhsa_enable_private_segment 0
		.amdhsa_system_sgpr_workgroup_id_x 1
		.amdhsa_system_sgpr_workgroup_id_y 0
		.amdhsa_system_sgpr_workgroup_id_z 0
		.amdhsa_system_sgpr_workgroup_info 0
		.amdhsa_system_vgpr_workitem_id 0
		.amdhsa_next_free_vgpr 72
		.amdhsa_next_free_sgpr 28
		.amdhsa_named_barrier_count 0
		.amdhsa_reserve_vcc 1
		.amdhsa_float_round_mode_32 0
		.amdhsa_float_round_mode_16_64 0
		.amdhsa_float_denorm_mode_32 3
		.amdhsa_float_denorm_mode_16_64 3
		.amdhsa_fp16_overflow 0
		.amdhsa_memory_ordered 1
		.amdhsa_forward_progress 1
		.amdhsa_inst_pref_size 23
		.amdhsa_round_robin_scheduling 0
		.amdhsa_exception_fp_ieee_invalid_op 0
		.amdhsa_exception_fp_denorm_src 0
		.amdhsa_exception_fp_ieee_div_zero 0
		.amdhsa_exception_fp_ieee_overflow 0
		.amdhsa_exception_fp_ieee_underflow 0
		.amdhsa_exception_fp_ieee_inexact 0
		.amdhsa_exception_int_div_zero 0
	.end_amdhsa_kernel
	.section	.text._ZN9rocsparseL39bsrgeam_wf_per_row_multipass_2_3_kernelILj256ELj3ELj32EdEEv20rocsparse_direction_iiiNS_24const_host_device_scalarIT2_EEPKiS6_PKS3_S4_S6_S6_S8_S6_PiPS3_21rocsparse_index_base_SB_SB_b,"axG",@progbits,_ZN9rocsparseL39bsrgeam_wf_per_row_multipass_2_3_kernelILj256ELj3ELj32EdEEv20rocsparse_direction_iiiNS_24const_host_device_scalarIT2_EEPKiS6_PKS3_S4_S6_S6_S8_S6_PiPS3_21rocsparse_index_base_SB_SB_b,comdat
.Lfunc_end10:
	.size	_ZN9rocsparseL39bsrgeam_wf_per_row_multipass_2_3_kernelILj256ELj3ELj32EdEEv20rocsparse_direction_iiiNS_24const_host_device_scalarIT2_EEPKiS6_PKS3_S4_S6_S6_S8_S6_PiPS3_21rocsparse_index_base_SB_SB_b, .Lfunc_end10-_ZN9rocsparseL39bsrgeam_wf_per_row_multipass_2_3_kernelILj256ELj3ELj32EdEEv20rocsparse_direction_iiiNS_24const_host_device_scalarIT2_EEPKiS6_PKS3_S4_S6_S6_S8_S6_PiPS3_21rocsparse_index_base_SB_SB_b
                                        ; -- End function
	.set _ZN9rocsparseL39bsrgeam_wf_per_row_multipass_2_3_kernelILj256ELj3ELj32EdEEv20rocsparse_direction_iiiNS_24const_host_device_scalarIT2_EEPKiS6_PKS3_S4_S6_S6_S8_S6_PiPS3_21rocsparse_index_base_SB_SB_b.num_vgpr, 72
	.set _ZN9rocsparseL39bsrgeam_wf_per_row_multipass_2_3_kernelILj256ELj3ELj32EdEEv20rocsparse_direction_iiiNS_24const_host_device_scalarIT2_EEPKiS6_PKS3_S4_S6_S6_S8_S6_PiPS3_21rocsparse_index_base_SB_SB_b.num_agpr, 0
	.set _ZN9rocsparseL39bsrgeam_wf_per_row_multipass_2_3_kernelILj256ELj3ELj32EdEEv20rocsparse_direction_iiiNS_24const_host_device_scalarIT2_EEPKiS6_PKS3_S4_S6_S6_S8_S6_PiPS3_21rocsparse_index_base_SB_SB_b.numbered_sgpr, 28
	.set _ZN9rocsparseL39bsrgeam_wf_per_row_multipass_2_3_kernelILj256ELj3ELj32EdEEv20rocsparse_direction_iiiNS_24const_host_device_scalarIT2_EEPKiS6_PKS3_S4_S6_S6_S8_S6_PiPS3_21rocsparse_index_base_SB_SB_b.num_named_barrier, 0
	.set _ZN9rocsparseL39bsrgeam_wf_per_row_multipass_2_3_kernelILj256ELj3ELj32EdEEv20rocsparse_direction_iiiNS_24const_host_device_scalarIT2_EEPKiS6_PKS3_S4_S6_S6_S8_S6_PiPS3_21rocsparse_index_base_SB_SB_b.private_seg_size, 0
	.set _ZN9rocsparseL39bsrgeam_wf_per_row_multipass_2_3_kernelILj256ELj3ELj32EdEEv20rocsparse_direction_iiiNS_24const_host_device_scalarIT2_EEPKiS6_PKS3_S4_S6_S6_S8_S6_PiPS3_21rocsparse_index_base_SB_SB_b.uses_vcc, 1
	.set _ZN9rocsparseL39bsrgeam_wf_per_row_multipass_2_3_kernelILj256ELj3ELj32EdEEv20rocsparse_direction_iiiNS_24const_host_device_scalarIT2_EEPKiS6_PKS3_S4_S6_S6_S8_S6_PiPS3_21rocsparse_index_base_SB_SB_b.uses_flat_scratch, 0
	.set _ZN9rocsparseL39bsrgeam_wf_per_row_multipass_2_3_kernelILj256ELj3ELj32EdEEv20rocsparse_direction_iiiNS_24const_host_device_scalarIT2_EEPKiS6_PKS3_S4_S6_S6_S8_S6_PiPS3_21rocsparse_index_base_SB_SB_b.has_dyn_sized_stack, 0
	.set _ZN9rocsparseL39bsrgeam_wf_per_row_multipass_2_3_kernelILj256ELj3ELj32EdEEv20rocsparse_direction_iiiNS_24const_host_device_scalarIT2_EEPKiS6_PKS3_S4_S6_S6_S8_S6_PiPS3_21rocsparse_index_base_SB_SB_b.has_recursion, 0
	.set _ZN9rocsparseL39bsrgeam_wf_per_row_multipass_2_3_kernelILj256ELj3ELj32EdEEv20rocsparse_direction_iiiNS_24const_host_device_scalarIT2_EEPKiS6_PKS3_S4_S6_S6_S8_S6_PiPS3_21rocsparse_index_base_SB_SB_b.has_indirect_call, 0
	.section	.AMDGPU.csdata,"",@progbits
; Kernel info:
; codeLenInByte = 2888
; TotalNumSgprs: 30
; NumVgprs: 72
; ScratchSize: 0
; MemoryBound: 0
; FloatMode: 240
; IeeeMode: 1
; LDSByteSize: 18688 bytes/workgroup (compile time only)
; SGPRBlocks: 0
; VGPRBlocks: 4
; NumSGPRsForWavesPerEU: 30
; NumVGPRsForWavesPerEU: 72
; NamedBarCnt: 0
; Occupancy: 12
; WaveLimiterHint : 1
; COMPUTE_PGM_RSRC2:SCRATCH_EN: 0
; COMPUTE_PGM_RSRC2:USER_SGPR: 2
; COMPUTE_PGM_RSRC2:TRAP_HANDLER: 0
; COMPUTE_PGM_RSRC2:TGID_X_EN: 1
; COMPUTE_PGM_RSRC2:TGID_Y_EN: 0
; COMPUTE_PGM_RSRC2:TGID_Z_EN: 0
; COMPUTE_PGM_RSRC2:TIDIG_COMP_CNT: 0
	.section	.text._ZN9rocsparseL39bsrgeam_wf_per_row_multipass_2_3_kernelILj256ELj3ELj64EdEEv20rocsparse_direction_iiiNS_24const_host_device_scalarIT2_EEPKiS6_PKS3_S4_S6_S6_S8_S6_PiPS3_21rocsparse_index_base_SB_SB_b,"axG",@progbits,_ZN9rocsparseL39bsrgeam_wf_per_row_multipass_2_3_kernelILj256ELj3ELj64EdEEv20rocsparse_direction_iiiNS_24const_host_device_scalarIT2_EEPKiS6_PKS3_S4_S6_S6_S8_S6_PiPS3_21rocsparse_index_base_SB_SB_b,comdat
	.globl	_ZN9rocsparseL39bsrgeam_wf_per_row_multipass_2_3_kernelILj256ELj3ELj64EdEEv20rocsparse_direction_iiiNS_24const_host_device_scalarIT2_EEPKiS6_PKS3_S4_S6_S6_S8_S6_PiPS3_21rocsparse_index_base_SB_SB_b ; -- Begin function _ZN9rocsparseL39bsrgeam_wf_per_row_multipass_2_3_kernelILj256ELj3ELj64EdEEv20rocsparse_direction_iiiNS_24const_host_device_scalarIT2_EEPKiS6_PKS3_S4_S6_S6_S8_S6_PiPS3_21rocsparse_index_base_SB_SB_b
	.p2align	8
	.type	_ZN9rocsparseL39bsrgeam_wf_per_row_multipass_2_3_kernelILj256ELj3ELj64EdEEv20rocsparse_direction_iiiNS_24const_host_device_scalarIT2_EEPKiS6_PKS3_S4_S6_S6_S8_S6_PiPS3_21rocsparse_index_base_SB_SB_b,@function
_ZN9rocsparseL39bsrgeam_wf_per_row_multipass_2_3_kernelILj256ELj3ELj64EdEEv20rocsparse_direction_iiiNS_24const_host_device_scalarIT2_EEPKiS6_PKS3_S4_S6_S6_S8_S6_PiPS3_21rocsparse_index_base_SB_SB_b: ; @_ZN9rocsparseL39bsrgeam_wf_per_row_multipass_2_3_kernelILj256ELj3ELj64EdEEv20rocsparse_direction_iiiNS_24const_host_device_scalarIT2_EEPKiS6_PKS3_S4_S6_S6_S8_S6_PiPS3_21rocsparse_index_base_SB_SB_b
; %bb.0:
	s_clause 0x2
	s_load_b128 s[4:7], s[0:1], 0x68
	s_load_b64 s[8:9], s[0:1], 0x10
	s_load_b64 s[2:3], s[0:1], 0x30
	s_wait_kmcnt 0x0
	s_bitcmp1_b32 s7, 0
	v_mov_b64_e32 v[4:5], s[8:9]
	s_cselect_b32 s7, -1, 0
	s_delay_alu instid0(SALU_CYCLE_1)
	s_and_b32 vcc_lo, exec_lo, s7
	s_xor_b32 s7, s7, -1
	s_cbranch_vccnz .LBB11_2
; %bb.1:
	v_mov_b32_e32 v1, 0
	flat_load_b64 v[4:5], v1, s[8:9]
.LBB11_2:
	v_mov_b64_e32 v[6:7], s[2:3]
	s_and_not1_b32 vcc_lo, exec_lo, s7
	s_cbranch_vccnz .LBB11_4
; %bb.3:
	s_wait_xcnt 0x0
	v_mov_b32_e32 v1, 0
	flat_load_b64 v[6:7], v1, s[2:3]
.LBB11_4:
	s_load_b96 s[20:22], s[0:1], 0x0
	s_bfe_u32 s2, ttmp6, 0x4000c
	s_and_b32 s3, ttmp6, 15
	s_add_co_i32 s2, s2, 1
	s_getreg_b32 s7, hwreg(HW_REG_IB_STS2, 6, 4)
	s_mul_i32 s2, ttmp9, s2
	v_lshrrev_b32_e32 v1, 6, v0
	s_add_co_i32 s3, s3, s2
	s_cmp_eq_u32 s7, 0
	s_cselect_b32 s2, ttmp9, s3
	s_delay_alu instid0(SALU_CYCLE_1) | instskip(NEXT) | instid1(SALU_CYCLE_1)
	s_lshl_b32 s2, s2, 2
	v_and_or_b32 v10, 0x3fffffc, s2, v1
	s_mov_b32 s2, exec_lo
	s_wait_kmcnt 0x0
	s_delay_alu instid0(VALU_DEP_1)
	v_cmpx_gt_i32_e64 s21, v10
	s_cbranch_execz .LBB11_39
; %bb.5:
	s_clause 0x2
	s_load_b128 s[8:11], s[0:1], 0x18
	s_load_b128 s[12:15], s[0:1], 0x38
	s_load_b64 s[2:3], s[0:1], 0x50
	v_lshlrev_b32_e32 v12, 2, v10
	s_wait_kmcnt 0x0
	s_clause 0x1
	global_load_b64 v[2:3], v12, s[8:9]
	global_load_b64 v[8:9], v12, s[12:13]
	global_load_b32 v11, v10, s[2:3] scale_offset
	s_wait_loadcnt 0x2
	s_wait_xcnt 0x0
	v_subrev_nc_u32_e32 v10, s4, v2
	v_cmp_lt_i32_e32 vcc_lo, v2, v3
	v_mov_b32_e32 v2, s22
	s_and_saveexec_b32 s2, vcc_lo
	s_cbranch_execz .LBB11_7
; %bb.6:
	global_load_b32 v2, v10, s[10:11] scale_offset
	s_wait_loadcnt 0x0
	v_subrev_nc_u32_e32 v2, s4, v2
.LBB11_7:
	s_or_b32 exec_lo, exec_lo, s2
	s_clause 0x2
	s_load_b128 s[16:19], s[0:1], 0x58
	s_load_b64 s[2:3], s[0:1], 0x28
	s_load_b64 s[8:9], s[0:1], 0x48
	s_wait_loadcnt 0x1
	v_subrev_nc_u32_e32 v12, s5, v8
	v_cmp_lt_i32_e32 vcc_lo, v8, v9
	v_mov_b32_e32 v8, s22
	s_wait_xcnt 0x0
	s_and_saveexec_b32 s0, vcc_lo
	s_cbranch_execz .LBB11_9
; %bb.8:
	global_load_b32 v8, v12, s[14:15] scale_offset
	s_wait_loadcnt 0x0
	v_subrev_nc_u32_e32 v8, s5, v8
.LBB11_9:
	s_or_b32 exec_lo, exec_lo, s0
	s_wait_loadcnt 0x0
	v_subrev_nc_u32_e32 v24, s6, v11
	v_mbcnt_lo_u32_b32 v11, -1, 0
	v_and_b32_e32 v13, 63, v0
	v_subrev_nc_u32_e32 v22, s4, v3
	v_mul_u32_u24_e32 v21, 0x1200, v1
	s_movk_i32 s0, 0xc0
	v_subrev_nc_u32_e32 v23, s5, v9
	v_mul_u32_u24_e32 v3, 0x48, v13
	v_and_or_b32 v20, v0, s0, 0x4800
	v_bitop3_b32 v0, v0, 63, v0 bitop3:0xc
	s_mov_b32 s12, 0
	v_mov_b64_e32 v[16:17], 0
	v_mad_u32_u24 v27, 0x1200, v1, v3
	v_or_b32_e32 v1, 32, v11
	s_mov_b32 s13, s12
	s_mov_b32 s24, s12
	;; [unrolled: 1-line block ×3, first 2 shown]
	s_cmp_lg_u32 s20, 0
	v_cmp_gt_i32_e32 vcc_lo, 32, v1
	v_mov_b64_e32 v[14:15], s[24:25]
	s_cselect_b32 s1, -1, 0
	s_cmp_eq_u32 s20, 0
	v_dual_mov_b32 v35, 1 :: v_dual_cndmask_b32 v1, v11, v1, vcc_lo
	v_dual_add_nc_u32 v25, v10, v13 :: v_dual_min_i32 v36, v8, v2
	v_dual_add_nc_u32 v26, v12, v13 :: v_dual_bitop2_b32 v2, 16, v11 bitop3:0x14
	v_lshrrev_b64 v[8:9], v0, -1
	s_delay_alu instid0(VALU_DEP_4) | instskip(SKIP_1) | instid1(VALU_DEP_4)
	v_dual_lshlrev_b32 v28, 2, v1 :: v_dual_bitop2_b32 v0, 8, v11 bitop3:0x14
	v_add_nc_u32_e32 v9, s6, v13
	v_cmp_gt_i32_e32 vcc_lo, 32, v2
	s_cselect_b32 s6, 8, 24
	s_cselect_b32 s7, 16, 48
	;; [unrolled: 1-line block ×4, first 2 shown]
	v_dual_cndmask_b32 v1, v11, v2, vcc_lo :: v_dual_bitop2_b32 v2, 4, v11 bitop3:0x14
	v_cmp_gt_i32_e32 vcc_lo, 32, v0
	v_xor_b32_e32 v3, 2, v11
	s_cselect_b32 s23, 56, 40
	v_add_nc_u32_e32 v34, v20, v13
	v_mov_b64_e32 v[12:13], s[12:13]
	v_cndmask_b32_e32 v0, v11, v0, vcc_lo
	v_cmp_gt_i32_e32 vcc_lo, 32, v2
	v_dual_lshlrev_b32 v29, 2, v1 :: v_dual_bitop2_b32 v10, 1, v11 bitop3:0x14
	s_cselect_b32 s13, 40, 56
	s_delay_alu instid0(VALU_DEP_3) | instskip(SKIP_4) | instid1(VALU_DEP_3)
	v_dual_lshlrev_b32 v30, 2, v0 :: v_dual_cndmask_b32 v2, v11, v2, vcc_lo
	v_cmp_gt_i32_e32 vcc_lo, 32, v3
	v_cndmask_b32_e32 v3, v11, v3, vcc_lo
	v_cmp_gt_i32_e32 vcc_lo, 32, v10
	v_cndmask_b32_e32 v10, v11, v10, vcc_lo
	v_dual_lshlrev_b32 v31, 2, v2 :: v_dual_lshlrev_b32 v32, 2, v3
	s_delay_alu instid0(VALU_DEP_2)
	v_dual_mov_b32 v11, 0 :: v_dual_lshlrev_b32 v33, 2, v10
	s_branch .LBB11_11
.LBB11_10:                              ;   in Loop: Header=BB11_11 Depth=1
	s_wait_xcnt 0x0
	s_or_b32 exec_lo, exec_lo, s24
	ds_bpermute_b32 v0, v28, v37
	s_bcnt1_i32_b32 s24, vcc_lo
	s_wait_dscnt 0x0
	v_dual_add_nc_u32 v24, s24, v24 :: v_dual_min_i32 v0, v0, v37
	ds_bpermute_b32 v1, v29, v0
	s_wait_dscnt 0x0
	v_min_i32_e32 v0, v1, v0
	ds_bpermute_b32 v1, v30, v0
	s_wait_dscnt 0x0
	v_min_i32_e32 v0, v1, v0
	;; [unrolled: 3-line block ×5, first 2 shown]
	s_delay_alu instid0(VALU_DEP_1) | instskip(SKIP_1) | instid1(SALU_CYCLE_1)
	v_cmp_le_i32_e64 s0, s22, v36
	s_or_b32 s12, s0, s12
	s_and_not1_b32 exec_lo, exec_lo, s12
	s_cbranch_execz .LBB11_39
.LBB11_11:                              ; =>This Loop Header: Depth=1
                                        ;     Child Loop BB11_14 Depth 2
                                        ;     Child Loop BB11_27 Depth 2
	v_mov_b32_e32 v37, s22
	s_mov_b32 s24, exec_lo
	ds_store_2addr_b64 v27, v[12:13], v[14:15] offset1:1
	ds_store_2addr_b64 v27, v[12:13], v[14:15] offset0:2 offset1:3
	ds_store_2addr_b64 v27, v[12:13], v[14:15] offset0:4 offset1:5
	ds_store_2addr_b64 v27, v[12:13], v[14:15] offset0:6 offset1:7
	ds_store_b8 v34, v11
	ds_store_b64 v27, v[16:17] offset:64
	s_wait_dscnt 0x0
	v_cmpx_lt_i32_e64 v25, v22
	s_cbranch_execz .LBB11_24
; %bb.12:                               ;   in Loop: Header=BB11_11 Depth=1
	v_mad_u32 v2, v25, 9, 8
	v_mov_b32_e32 v37, s22
	s_mov_b32 s25, 0
	s_branch .LBB11_14
.LBB11_13:                              ;   in Loop: Header=BB11_14 Depth=2
	s_or_b32 exec_lo, exec_lo, s27
	s_delay_alu instid0(SALU_CYCLE_1) | instskip(NEXT) | instid1(SALU_CYCLE_1)
	s_and_b32 s0, exec_lo, s26
	s_or_b32 s25, s0, s25
	s_delay_alu instid0(SALU_CYCLE_1)
	s_and_not1_b32 exec_lo, exec_lo, s25
	s_cbranch_execz .LBB11_23
.LBB11_14:                              ;   Parent Loop BB11_11 Depth=1
                                        ; =>  This Inner Loop Header: Depth=2
	global_load_b32 v0, v25, s[10:11] scale_offset
	s_mov_b32 s26, exec_lo
	s_wait_loadcnt 0x0
	v_subrev_nc_u32_e32 v1, s4, v0
	s_delay_alu instid0(VALU_DEP_1) | instskip(NEXT) | instid1(VALU_DEP_1)
	v_sub_nc_u32_e32 v0, v1, v36
	v_cmp_gt_u32_e64 s0, 64, v0
	s_wait_xcnt 0x0
	v_cmpx_lt_u32_e32 63, v0
	s_xor_b32 s26, exec_lo, s26
; %bb.15:                               ;   in Loop: Header=BB11_14 Depth=2
	v_min_i32_e32 v37, v1, v37
                                        ; implicit-def: $vgpr0
; %bb.16:                               ;   in Loop: Header=BB11_14 Depth=2
	s_and_not1_saveexec_b32 s26, s26
	s_cbranch_execz .LBB11_21
; %bb.17:                               ;   in Loop: Header=BB11_14 Depth=2
	v_dual_add_nc_u32 v1, -8, v2 :: v_dual_add_nc_u32 v10, -4, v2
	v_dual_add_nc_u32 v40, -6, v2 :: v_dual_add_nc_u32 v38, -3, v2
	s_mov_b32 s27, -1
	s_wait_kmcnt 0x0
	global_load_b64 v[18:19], v1, s[2:3] scale_offset
	s_wait_xcnt 0x0
	v_mul_lo_u32 v1, 0x48, v0
	v_add_nc_u32_e32 v41, v20, v0
	s_and_not1_b32 vcc_lo, exec_lo, s1
	s_delay_alu instid0(VALU_DEP_2)
	v_dual_add_nc_u32 v39, -2, v2 :: v_dual_add_nc_u32 v3, v21, v1
	v_lshl_add_u64 v[0:1], v[10:11], 3, s[2:3]
	v_add_nc_u32_e32 v10, -5, v2
	s_wait_loadcnt 0x0
	v_mul_f64_e32 v[42:43], v[4:5], v[18:19]
	v_dual_add_nc_u32 v19, -7, v2 :: v_dual_add_nc_u32 v18, -1, v2
	ds_store_b8 v41, v35
	ds_store_b64 v3, v[42:43]
	s_cbranch_vccnz .LBB11_19
; %bb.18:                               ;   in Loop: Header=BB11_14 Depth=2
	s_clause 0x7
	global_load_b64 v[42:43], v10, s[2:3] scale_offset
	global_load_b64 v[44:45], v39, s[2:3] scale_offset
	;; [unrolled: 1-line block ×3, first 2 shown]
	global_load_b64 v[48:49], v[0:1], off
	global_load_b64 v[50:51], v18, s[2:3] scale_offset
	global_load_b64 v[52:53], v40, s[2:3] scale_offset
	;; [unrolled: 1-line block ×4, first 2 shown]
	s_mov_b32 s27, 0
	s_wait_loadcnt 0x7
	v_mul_f64_e32 v[42:43], v[4:5], v[42:43]
	s_wait_loadcnt 0x6
	v_mul_f64_e32 v[44:45], v[4:5], v[44:45]
	;; [unrolled: 2-line block ×8, first 2 shown]
	ds_store_2addr_b64 v3, v[42:43], v[44:45] offset0:1 offset1:2
	ds_store_2addr_b64 v3, v[46:47], v[48:49] offset0:3 offset1:4
	;; [unrolled: 1-line block ×4, first 2 shown]
.LBB11_19:                              ;   in Loop: Header=BB11_14 Depth=2
	s_and_not1_b32 vcc_lo, exec_lo, s27
	s_cbranch_vccnz .LBB11_21
; %bb.20:                               ;   in Loop: Header=BB11_14 Depth=2
	s_clause 0x7
	global_load_b64 v[42:43], v40, s[2:3] scale_offset
	global_load_b64 v[44:45], v19, s[2:3] scale_offset
	;; [unrolled: 1-line block ×4, first 2 shown]
	global_load_b64 v[50:51], v[0:1], off
	global_load_b64 v[52:53], v38, s[2:3] scale_offset
	global_load_b64 v[54:55], v2, s[2:3] scale_offset
	;; [unrolled: 1-line block ×3, first 2 shown]
	s_wait_loadcnt 0x7
	s_wait_xcnt 0x0
	v_mul_f64_e32 v[18:19], v[4:5], v[42:43]
	s_wait_loadcnt 0x6
	v_mul_f64_e32 v[0:1], v[4:5], v[44:45]
	s_wait_loadcnt 0x5
	;; [unrolled: 2-line block ×7, first 2 shown]
	v_mul_f64_e32 v[46:47], v[4:5], v[56:57]
	ds_store_2addr_b64 v3, v[0:1], v[18:19] offset0:1 offset1:2
	ds_store_2addr_b64 v3, v[38:39], v[40:41] offset0:3 offset1:4
	;; [unrolled: 1-line block ×4, first 2 shown]
.LBB11_21:                              ;   in Loop: Header=BB11_14 Depth=2
	s_wait_xcnt 0x0
	s_or_b32 exec_lo, exec_lo, s26
	s_mov_b32 s26, -1
	s_and_saveexec_b32 s27, s0
	s_cbranch_execz .LBB11_13
; %bb.22:                               ;   in Loop: Header=BB11_14 Depth=2
	v_add_nc_u32_e32 v25, 64, v25
	v_add_nc_u32_e32 v2, 0x240, v2
	s_delay_alu instid0(VALU_DEP_2)
	v_cmp_ge_i32_e32 vcc_lo, v25, v22
	s_or_not1_b32 s26, vcc_lo, exec_lo
	s_branch .LBB11_13
.LBB11_23:                              ;   in Loop: Header=BB11_11 Depth=1
	s_or_b32 exec_lo, exec_lo, s25
.LBB11_24:                              ;   in Loop: Header=BB11_11 Depth=1
	s_delay_alu instid0(SALU_CYCLE_1) | instskip(NEXT) | instid1(SALU_CYCLE_1)
	s_or_b32 exec_lo, exec_lo, s24
	s_mov_b32 s24, exec_lo
	s_wait_dscnt 0x0
	v_cmpx_lt_i32_e64 v26, v23
	s_cbranch_execz .LBB11_37
; %bb.25:                               ;   in Loop: Header=BB11_11 Depth=1
	v_mad_u32 v38, v26, 9, 8
	s_mov_b32 s25, 0
	s_branch .LBB11_27
.LBB11_26:                              ;   in Loop: Header=BB11_27 Depth=2
	s_or_b32 exec_lo, exec_lo, s27
	s_delay_alu instid0(SALU_CYCLE_1) | instskip(NEXT) | instid1(SALU_CYCLE_1)
	s_and_b32 s0, exec_lo, s26
	s_or_b32 s25, s0, s25
	s_delay_alu instid0(SALU_CYCLE_1)
	s_and_not1_b32 exec_lo, exec_lo, s25
	s_cbranch_execz .LBB11_36
.LBB11_27:                              ;   Parent Loop BB11_11 Depth=1
                                        ; =>  This Inner Loop Header: Depth=2
	global_load_b32 v0, v26, s[14:15] scale_offset
	s_mov_b32 s26, exec_lo
	s_wait_loadcnt 0x0
	v_subrev_nc_u32_e32 v0, s5, v0
	s_delay_alu instid0(VALU_DEP_1) | instskip(NEXT) | instid1(VALU_DEP_1)
	v_sub_nc_u32_e32 v18, v0, v36
	v_cmp_gt_u32_e64 s0, 64, v18
	s_wait_xcnt 0x0
	v_cmpx_lt_u32_e32 63, v18
	s_xor_b32 s26, exec_lo, s26
; %bb.28:                               ;   in Loop: Header=BB11_27 Depth=2
	v_min_i32_e32 v37, v0, v37
                                        ; implicit-def: $vgpr18
; %bb.29:                               ;   in Loop: Header=BB11_27 Depth=2
	s_and_not1_saveexec_b32 s26, s26
	s_cbranch_execz .LBB11_34
; %bb.30:                               ;   in Loop: Header=BB11_27 Depth=2
	v_dual_add_nc_u32 v0, -8, v38 :: v_dual_add_nc_u32 v10, -4, v38
	v_dual_add_nc_u32 v43, -7, v38 :: v_dual_add_nc_u32 v42, -1, v38
	s_mov_b32 s27, -1
	s_wait_kmcnt 0x0
	global_load_b64 v[40:41], v0, s[8:9] scale_offset
	s_wait_xcnt 0x0
	v_mul_lo_u32 v0, 0x48, v18
	s_and_not1_b32 vcc_lo, exec_lo, s1
	v_add_nc_u32_e32 v45, v20, v18
	v_lshl_add_u64 v[18:19], v[10:11], 3, s[8:9]
	v_dual_add_nc_u32 v10, -2, v38 :: v_dual_add_nc_u32 v44, -3, v38
	s_delay_alu instid0(VALU_DEP_4)
	v_add_nc_u32_e32 v39, v21, v0
	ds_load_2addr_b64 v[0:3], v39 offset1:1
	s_wait_loadcnt_dscnt 0x0
	v_fmac_f64_e32 v[0:1], v[6:7], v[40:41]
	v_dual_add_nc_u32 v41, -5, v38 :: v_dual_add_nc_u32 v40, -6, v38
	ds_store_b8 v45, v35
	ds_store_b64 v39, v[0:1]
	s_cbranch_vccnz .LBB11_32
; %bb.31:                               ;   in Loop: Header=BB11_27 Depth=2
	s_clause 0x7
	global_load_b64 v[0:1], v10, s[8:9] scale_offset
	global_load_b64 v[58:59], v43, s[8:9] scale_offset
	global_load_b64 v[60:61], v[18:19], off
	global_load_b64 v[62:63], v42, s[8:9] scale_offset
	global_load_b64 v[64:65], v40, s[8:9] scale_offset
	;; [unrolled: 1-line block ×5, first 2 shown]
	ds_load_2addr_b64 v[46:49], v39 offset0:2 offset1:3
	ds_load_2addr_b64 v[50:53], v39 offset0:4 offset1:5
	ds_load_2addr_b64 v[54:57], v39 offset0:6 offset1:7
	ds_load_b64 v[72:73], v39 offset:64
	s_mov_b32 s27, 0
	s_wait_loadcnt_dscnt 0x703
	v_fmac_f64_e32 v[46:47], v[6:7], v[0:1]
	s_wait_loadcnt 0x6
	v_fmac_f64_e32 v[48:49], v[6:7], v[58:59]
	s_wait_loadcnt_dscnt 0x502
	v_fmac_f64_e32 v[50:51], v[6:7], v[60:61]
	s_wait_loadcnt 0x4
	v_fmac_f64_e32 v[52:53], v[6:7], v[62:63]
	;; [unrolled: 4-line block ×3, first 2 shown]
	s_wait_loadcnt 0x1
	v_fma_f64 v[0:1], v[6:7], v[68:69], v[2:3]
	s_wait_loadcnt_dscnt 0x0
	v_fmac_f64_e32 v[72:73], v[6:7], v[70:71]
	ds_store_2addr_b64 v39, v[0:1], v[46:47] offset0:1 offset1:2
	ds_store_2addr_b64 v39, v[48:49], v[50:51] offset0:3 offset1:4
	;; [unrolled: 1-line block ×4, first 2 shown]
.LBB11_32:                              ;   in Loop: Header=BB11_27 Depth=2
	s_and_not1_b32 vcc_lo, exec_lo, s27
	s_cbranch_vccnz .LBB11_34
; %bb.33:                               ;   in Loop: Header=BB11_27 Depth=2
	s_clause 0x7
	global_load_b64 v[0:1], v43, s[8:9] scale_offset
	global_load_b64 v[52:53], v40, s[8:9] scale_offset
	;; [unrolled: 1-line block ×3, first 2 shown]
	global_load_b64 v[56:57], v[18:19], off
	global_load_b64 v[58:59], v44, s[8:9] scale_offset
	global_load_b64 v[60:61], v42, s[8:9] scale_offset
	;; [unrolled: 1-line block ×4, first 2 shown]
	s_wait_xcnt 0x2
	ds_load_2addr_b64 v[40:43], v39 offset0:2 offset1:3
	ds_load_2addr_b64 v[44:47], v39 offset0:4 offset1:5
	;; [unrolled: 1-line block ×3, first 2 shown]
	ds_load_b64 v[18:19], v39 offset:64
	s_wait_loadcnt 0x7
	v_fmac_f64_e32 v[2:3], v[6:7], v[0:1]
	s_wait_loadcnt_dscnt 0x603
	v_fmac_f64_e32 v[40:41], v[6:7], v[52:53]
	s_wait_loadcnt 0x5
	v_fmac_f64_e32 v[42:43], v[6:7], v[54:55]
	s_wait_loadcnt_dscnt 0x402
	v_fmac_f64_e32 v[44:45], v[6:7], v[56:57]
	;; [unrolled: 4-line block ×4, first 2 shown]
	v_dual_mov_b32 v0, v2 :: v_dual_mov_b32 v1, v3
	v_dual_mov_b32 v2, v40 :: v_dual_mov_b32 v3, v41
	;; [unrolled: 1-line block ×7, first 2 shown]
	ds_store_2addr_b64 v39, v[0:1], v[2:3] offset0:1 offset1:2
	ds_store_2addr_b64 v39, v[40:41], v[42:43] offset0:3 offset1:4
	;; [unrolled: 1-line block ×4, first 2 shown]
.LBB11_34:                              ;   in Loop: Header=BB11_27 Depth=2
	s_wait_xcnt 0x0
	s_or_b32 exec_lo, exec_lo, s26
	s_mov_b32 s26, -1
	s_and_saveexec_b32 s27, s0
	s_cbranch_execz .LBB11_26
; %bb.35:                               ;   in Loop: Header=BB11_27 Depth=2
	v_add_nc_u32_e32 v26, 64, v26
	v_add_nc_u32_e32 v38, 0x240, v38
	s_delay_alu instid0(VALU_DEP_2)
	v_cmp_ge_i32_e32 vcc_lo, v26, v23
	s_or_not1_b32 s26, vcc_lo, exec_lo
	s_branch .LBB11_26
.LBB11_36:                              ;   in Loop: Header=BB11_11 Depth=1
	s_or_b32 exec_lo, exec_lo, s25
.LBB11_37:                              ;   in Loop: Header=BB11_11 Depth=1
	s_delay_alu instid0(SALU_CYCLE_1)
	s_or_b32 exec_lo, exec_lo, s24
	s_wait_dscnt 0x0
	ds_load_u8 v0, v34
	s_mov_b32 s24, exec_lo
	s_wait_dscnt 0x0
	v_and_b32_e32 v1, 1, v0
	v_cmp_ne_u16_e32 vcc_lo, 0, v0
	s_delay_alu instid0(VALU_DEP_2)
	v_cmpx_eq_u32_e32 1, v1
	s_cbranch_execz .LBB11_10
; %bb.38:                               ;   in Loop: Header=BB11_11 Depth=1
	v_dual_add_nc_u32 v18, s6, v27 :: v_dual_bitop2_b32 v10, vcc_lo, v8 bitop3:0x40
	v_dual_add_nc_u32 v40, s20, v27 :: v_dual_add_nc_u32 v42, s13, v27
	v_dual_add_nc_u32 v36, v9, v36 :: v_dual_add_nc_u32 v38, s7, v27
	;; [unrolled: 1-line block ×3, first 2 shown]
	ds_load_2addr_b64 v[0:3], v27 offset1:4
	ds_load_b64 v[18:19], v18
	ds_load_b64 v[38:39], v38
	;; [unrolled: 1-line block ×6, first 2 shown]
	ds_load_b64 v[48:49], v27 offset:64
	v_bcnt_u32_b32 v10, v10, 0
	s_delay_alu instid0(VALU_DEP_1) | instskip(NEXT) | instid1(VALU_DEP_1)
	v_add3_u32 v10, v24, v10, -1
	v_lshl_add_u32 v50, v10, 3, v10
	s_wait_kmcnt 0x0
	global_store_b32 v10, v36, s[16:17] scale_offset
	s_wait_xcnt 0x0
	v_dual_add_nc_u32 v10, 1, v50 :: v_dual_add_nc_u32 v36, 2, v50
	v_dual_add_nc_u32 v51, 3, v50 :: v_dual_add_nc_u32 v52, 4, v50
	v_dual_add_nc_u32 v53, 5, v50 :: v_dual_add_nc_u32 v54, 6, v50
	v_dual_add_nc_u32 v55, 7, v50 :: v_dual_add_nc_u32 v56, 8, v50
	s_wait_dscnt 0x7
	global_store_b64 v50, v[0:1], s[18:19] scale_offset
	s_wait_dscnt 0x6
	global_store_b64 v10, v[18:19], s[18:19] scale_offset
	;; [unrolled: 2-line block ×3, first 2 shown]
	s_wait_dscnt 0x4
	s_clause 0x1
	global_store_b64 v51, v[40:41], s[18:19] scale_offset
	global_store_b64 v52, v[2:3], s[18:19] scale_offset
	s_wait_dscnt 0x3
	global_store_b64 v53, v[42:43], s[18:19] scale_offset
	s_wait_dscnt 0x2
	;; [unrolled: 2-line block ×4, first 2 shown]
	global_store_b64 v56, v[48:49], s[18:19] scale_offset
	s_branch .LBB11_10
.LBB11_39:
	s_sendmsg sendmsg(MSG_DEALLOC_VGPRS)
	s_endpgm
	.section	.rodata,"a",@progbits
	.p2align	6, 0x0
	.amdhsa_kernel _ZN9rocsparseL39bsrgeam_wf_per_row_multipass_2_3_kernelILj256ELj3ELj64EdEEv20rocsparse_direction_iiiNS_24const_host_device_scalarIT2_EEPKiS6_PKS3_S4_S6_S6_S8_S6_PiPS3_21rocsparse_index_base_SB_SB_b
		.amdhsa_group_segment_fixed_size 18688
		.amdhsa_private_segment_fixed_size 0
		.amdhsa_kernarg_size 120
		.amdhsa_user_sgpr_count 2
		.amdhsa_user_sgpr_dispatch_ptr 0
		.amdhsa_user_sgpr_queue_ptr 0
		.amdhsa_user_sgpr_kernarg_segment_ptr 1
		.amdhsa_user_sgpr_dispatch_id 0
		.amdhsa_user_sgpr_kernarg_preload_length 0
		.amdhsa_user_sgpr_kernarg_preload_offset 0
		.amdhsa_user_sgpr_private_segment_size 0
		.amdhsa_wavefront_size32 1
		.amdhsa_uses_dynamic_stack 0
		.amdhsa_enable_private_segment 0
		.amdhsa_system_sgpr_workgroup_id_x 1
		.amdhsa_system_sgpr_workgroup_id_y 0
		.amdhsa_system_sgpr_workgroup_id_z 0
		.amdhsa_system_sgpr_workgroup_info 0
		.amdhsa_system_vgpr_workitem_id 0
		.amdhsa_next_free_vgpr 74
		.amdhsa_next_free_sgpr 28
		.amdhsa_named_barrier_count 0
		.amdhsa_reserve_vcc 1
		.amdhsa_float_round_mode_32 0
		.amdhsa_float_round_mode_16_64 0
		.amdhsa_float_denorm_mode_32 3
		.amdhsa_float_denorm_mode_16_64 3
		.amdhsa_fp16_overflow 0
		.amdhsa_memory_ordered 1
		.amdhsa_forward_progress 1
		.amdhsa_inst_pref_size 23
		.amdhsa_round_robin_scheduling 0
		.amdhsa_exception_fp_ieee_invalid_op 0
		.amdhsa_exception_fp_denorm_src 0
		.amdhsa_exception_fp_ieee_div_zero 0
		.amdhsa_exception_fp_ieee_overflow 0
		.amdhsa_exception_fp_ieee_underflow 0
		.amdhsa_exception_fp_ieee_inexact 0
		.amdhsa_exception_int_div_zero 0
	.end_amdhsa_kernel
	.section	.text._ZN9rocsparseL39bsrgeam_wf_per_row_multipass_2_3_kernelILj256ELj3ELj64EdEEv20rocsparse_direction_iiiNS_24const_host_device_scalarIT2_EEPKiS6_PKS3_S4_S6_S6_S8_S6_PiPS3_21rocsparse_index_base_SB_SB_b,"axG",@progbits,_ZN9rocsparseL39bsrgeam_wf_per_row_multipass_2_3_kernelILj256ELj3ELj64EdEEv20rocsparse_direction_iiiNS_24const_host_device_scalarIT2_EEPKiS6_PKS3_S4_S6_S6_S8_S6_PiPS3_21rocsparse_index_base_SB_SB_b,comdat
.Lfunc_end11:
	.size	_ZN9rocsparseL39bsrgeam_wf_per_row_multipass_2_3_kernelILj256ELj3ELj64EdEEv20rocsparse_direction_iiiNS_24const_host_device_scalarIT2_EEPKiS6_PKS3_S4_S6_S6_S8_S6_PiPS3_21rocsparse_index_base_SB_SB_b, .Lfunc_end11-_ZN9rocsparseL39bsrgeam_wf_per_row_multipass_2_3_kernelILj256ELj3ELj64EdEEv20rocsparse_direction_iiiNS_24const_host_device_scalarIT2_EEPKiS6_PKS3_S4_S6_S6_S8_S6_PiPS3_21rocsparse_index_base_SB_SB_b
                                        ; -- End function
	.set _ZN9rocsparseL39bsrgeam_wf_per_row_multipass_2_3_kernelILj256ELj3ELj64EdEEv20rocsparse_direction_iiiNS_24const_host_device_scalarIT2_EEPKiS6_PKS3_S4_S6_S6_S8_S6_PiPS3_21rocsparse_index_base_SB_SB_b.num_vgpr, 74
	.set _ZN9rocsparseL39bsrgeam_wf_per_row_multipass_2_3_kernelILj256ELj3ELj64EdEEv20rocsparse_direction_iiiNS_24const_host_device_scalarIT2_EEPKiS6_PKS3_S4_S6_S6_S8_S6_PiPS3_21rocsparse_index_base_SB_SB_b.num_agpr, 0
	.set _ZN9rocsparseL39bsrgeam_wf_per_row_multipass_2_3_kernelILj256ELj3ELj64EdEEv20rocsparse_direction_iiiNS_24const_host_device_scalarIT2_EEPKiS6_PKS3_S4_S6_S6_S8_S6_PiPS3_21rocsparse_index_base_SB_SB_b.numbered_sgpr, 28
	.set _ZN9rocsparseL39bsrgeam_wf_per_row_multipass_2_3_kernelILj256ELj3ELj64EdEEv20rocsparse_direction_iiiNS_24const_host_device_scalarIT2_EEPKiS6_PKS3_S4_S6_S6_S8_S6_PiPS3_21rocsparse_index_base_SB_SB_b.num_named_barrier, 0
	.set _ZN9rocsparseL39bsrgeam_wf_per_row_multipass_2_3_kernelILj256ELj3ELj64EdEEv20rocsparse_direction_iiiNS_24const_host_device_scalarIT2_EEPKiS6_PKS3_S4_S6_S6_S8_S6_PiPS3_21rocsparse_index_base_SB_SB_b.private_seg_size, 0
	.set _ZN9rocsparseL39bsrgeam_wf_per_row_multipass_2_3_kernelILj256ELj3ELj64EdEEv20rocsparse_direction_iiiNS_24const_host_device_scalarIT2_EEPKiS6_PKS3_S4_S6_S6_S8_S6_PiPS3_21rocsparse_index_base_SB_SB_b.uses_vcc, 1
	.set _ZN9rocsparseL39bsrgeam_wf_per_row_multipass_2_3_kernelILj256ELj3ELj64EdEEv20rocsparse_direction_iiiNS_24const_host_device_scalarIT2_EEPKiS6_PKS3_S4_S6_S6_S8_S6_PiPS3_21rocsparse_index_base_SB_SB_b.uses_flat_scratch, 0
	.set _ZN9rocsparseL39bsrgeam_wf_per_row_multipass_2_3_kernelILj256ELj3ELj64EdEEv20rocsparse_direction_iiiNS_24const_host_device_scalarIT2_EEPKiS6_PKS3_S4_S6_S6_S8_S6_PiPS3_21rocsparse_index_base_SB_SB_b.has_dyn_sized_stack, 0
	.set _ZN9rocsparseL39bsrgeam_wf_per_row_multipass_2_3_kernelILj256ELj3ELj64EdEEv20rocsparse_direction_iiiNS_24const_host_device_scalarIT2_EEPKiS6_PKS3_S4_S6_S6_S8_S6_PiPS3_21rocsparse_index_base_SB_SB_b.has_recursion, 0
	.set _ZN9rocsparseL39bsrgeam_wf_per_row_multipass_2_3_kernelILj256ELj3ELj64EdEEv20rocsparse_direction_iiiNS_24const_host_device_scalarIT2_EEPKiS6_PKS3_S4_S6_S6_S8_S6_PiPS3_21rocsparse_index_base_SB_SB_b.has_indirect_call, 0
	.section	.AMDGPU.csdata,"",@progbits
; Kernel info:
; codeLenInByte = 2932
; TotalNumSgprs: 30
; NumVgprs: 74
; ScratchSize: 0
; MemoryBound: 0
; FloatMode: 240
; IeeeMode: 1
; LDSByteSize: 18688 bytes/workgroup (compile time only)
; SGPRBlocks: 0
; VGPRBlocks: 4
; NumSGPRsForWavesPerEU: 30
; NumVGPRsForWavesPerEU: 74
; NamedBarCnt: 0
; Occupancy: 12
; WaveLimiterHint : 1
; COMPUTE_PGM_RSRC2:SCRATCH_EN: 0
; COMPUTE_PGM_RSRC2:USER_SGPR: 2
; COMPUTE_PGM_RSRC2:TRAP_HANDLER: 0
; COMPUTE_PGM_RSRC2:TGID_X_EN: 1
; COMPUTE_PGM_RSRC2:TGID_Y_EN: 0
; COMPUTE_PGM_RSRC2:TGID_Z_EN: 0
; COMPUTE_PGM_RSRC2:TIDIG_COMP_CNT: 0
	.section	.text._ZN9rocsparseL35bsrgeam_wf_per_row_multipass_kernelILj64ELj4EdEEv20rocsparse_direction_iiiNS_24const_host_device_scalarIT1_EEPKiS6_PKS3_S4_S6_S6_S8_S6_PiPS3_21rocsparse_index_base_SB_SB_b,"axG",@progbits,_ZN9rocsparseL35bsrgeam_wf_per_row_multipass_kernelILj64ELj4EdEEv20rocsparse_direction_iiiNS_24const_host_device_scalarIT1_EEPKiS6_PKS3_S4_S6_S6_S8_S6_PiPS3_21rocsparse_index_base_SB_SB_b,comdat
	.globl	_ZN9rocsparseL35bsrgeam_wf_per_row_multipass_kernelILj64ELj4EdEEv20rocsparse_direction_iiiNS_24const_host_device_scalarIT1_EEPKiS6_PKS3_S4_S6_S6_S8_S6_PiPS3_21rocsparse_index_base_SB_SB_b ; -- Begin function _ZN9rocsparseL35bsrgeam_wf_per_row_multipass_kernelILj64ELj4EdEEv20rocsparse_direction_iiiNS_24const_host_device_scalarIT1_EEPKiS6_PKS3_S4_S6_S6_S8_S6_PiPS3_21rocsparse_index_base_SB_SB_b
	.p2align	8
	.type	_ZN9rocsparseL35bsrgeam_wf_per_row_multipass_kernelILj64ELj4EdEEv20rocsparse_direction_iiiNS_24const_host_device_scalarIT1_EEPKiS6_PKS3_S4_S6_S6_S8_S6_PiPS3_21rocsparse_index_base_SB_SB_b,@function
_ZN9rocsparseL35bsrgeam_wf_per_row_multipass_kernelILj64ELj4EdEEv20rocsparse_direction_iiiNS_24const_host_device_scalarIT1_EEPKiS6_PKS3_S4_S6_S6_S8_S6_PiPS3_21rocsparse_index_base_SB_SB_b: ; @_ZN9rocsparseL35bsrgeam_wf_per_row_multipass_kernelILj64ELj4EdEEv20rocsparse_direction_iiiNS_24const_host_device_scalarIT1_EEPKiS6_PKS3_S4_S6_S6_S8_S6_PiPS3_21rocsparse_index_base_SB_SB_b
; %bb.0:
	s_clause 0x2
	s_load_b128 s[4:7], s[0:1], 0x68
	s_load_b64 s[8:9], s[0:1], 0x10
	s_load_b64 s[2:3], s[0:1], 0x30
	s_wait_kmcnt 0x0
	s_bitcmp1_b32 s7, 0
	v_mov_b64_e32 v[2:3], s[8:9]
	s_cselect_b32 s7, -1, 0
	s_delay_alu instid0(SALU_CYCLE_1)
	s_and_b32 vcc_lo, exec_lo, s7
	s_xor_b32 s7, s7, -1
	s_cbranch_vccnz .LBB12_2
; %bb.1:
	v_mov_b32_e32 v1, 0
	flat_load_b64 v[2:3], v1, s[8:9]
.LBB12_2:
	s_load_b64 s[12:13], s[0:1], 0x18
	v_mov_b64_e32 v[4:5], s[2:3]
	s_and_not1_b32 vcc_lo, exec_lo, s7
	s_cbranch_vccnz .LBB12_4
; %bb.3:
	v_mov_b32_e32 v1, 0
	flat_load_b64 v[4:5], v1, s[2:3]
.LBB12_4:
	s_load_b128 s[8:11], s[0:1], 0x0
	s_bfe_u32 s2, ttmp6, 0x4000c
	s_and_b32 s3, ttmp6, 15
	s_add_co_i32 s2, s2, 1
	s_getreg_b32 s7, hwreg(HW_REG_IB_STS2, 6, 4)
	s_mul_i32 s2, ttmp9, s2
	v_dual_mov_b32 v6, 0 :: v_dual_lshrrev_b32 v1, 4, v0
	s_add_co_i32 s3, s3, s2
	s_cmp_eq_u32 s7, 0
	v_mov_b32_e32 v8, 0
	s_cselect_b32 s2, ttmp9, s3
	s_delay_alu instid0(SALU_CYCLE_1) | instskip(SKIP_1) | instid1(VALU_DEP_1)
	v_lshl_or_b32 v7, s2, 2, v1
	s_wait_kmcnt 0x0
	v_cmp_gt_i32_e64 s2, s9, v7
	v_cmp_le_i32_e32 vcc_lo, s9, v7
	s_and_saveexec_b32 s3, s2
	s_cbranch_execz .LBB12_6
; %bb.5:
	global_load_b32 v8, v7, s[12:13] scale_offset
	s_wait_loadcnt 0x0
	v_subrev_nc_u32_e32 v8, s4, v8
.LBB12_6:
	s_or_b32 exec_lo, exec_lo, s3
	s_load_b64 s[14:15], s[0:1], 0x38
	v_mov_b32_e32 v12, 0
	s_and_saveexec_b32 s3, s2
	s_cbranch_execz .LBB12_8
; %bb.7:
	global_load_b32 v9, v7, s[12:13] offset:4 scale_offset
	s_wait_loadcnt 0x0
	v_subrev_nc_u32_e32 v12, s4, v9
.LBB12_8:
	s_or_b32 exec_lo, exec_lo, s3
	s_and_saveexec_b32 s3, s2
	s_cbranch_execz .LBB12_10
; %bb.9:
	s_wait_kmcnt 0x0
	global_load_b32 v6, v7, s[14:15] scale_offset
	s_wait_loadcnt 0x0
	v_subrev_nc_u32_e32 v6, s5, v6
.LBB12_10:
	s_or_b32 exec_lo, exec_lo, s3
	v_dual_mov_b32 v14, 0 :: v_dual_mov_b32 v13, 0
	s_and_saveexec_b32 s3, s2
	s_cbranch_execz .LBB12_12
; %bb.11:
	s_wait_kmcnt 0x0
	global_load_b32 v9, v7, s[14:15] offset:4 scale_offset
	s_wait_loadcnt 0x0
	v_subrev_nc_u32_e32 v13, s5, v9
.LBB12_12:
	s_or_b32 exec_lo, exec_lo, s3
	s_and_saveexec_b32 s3, s2
	s_cbranch_execz .LBB12_14
; %bb.13:
	s_load_b64 s[12:13], s[0:1], 0x50
	s_wait_kmcnt 0x0
	global_load_b32 v7, v7, s[12:13] scale_offset
	s_wait_loadcnt 0x0
	v_subrev_nc_u32_e32 v14, s6, v7
.LBB12_14:
	s_or_b32 exec_lo, exec_lo, s3
	s_load_b64 s[16:17], s[0:1], 0x20
	v_mov_b32_e32 v7, s10
	s_mov_b32 s3, exec_lo
	v_cmpx_lt_i32_e64 v8, v12
	s_cbranch_execz .LBB12_16
; %bb.15:
	s_wait_kmcnt 0x0
	global_load_b32 v7, v8, s[16:17] scale_offset
	s_wait_loadcnt 0x0
	v_subrev_nc_u32_e32 v7, s4, v7
.LBB12_16:
	s_or_b32 exec_lo, exec_lo, s3
	s_load_b64 s[18:19], s[0:1], 0x40
	v_mov_b32_e32 v9, s10
	s_mov_b32 s3, exec_lo
	v_cmpx_lt_i32_e64 v6, v13
	s_cbranch_execz .LBB12_18
; %bb.17:
	s_wait_kmcnt 0x0
	global_load_b32 v9, v6, s[18:19] scale_offset
	s_wait_loadcnt 0x0
	v_subrev_nc_u32_e32 v9, s5, v9
.LBB12_18:
	s_or_b32 exec_lo, exec_lo, s3
	v_cndmask_b32_e64 v11, 0, 1, vcc_lo
	v_dual_mov_b32 v15, 0 :: v_dual_lshlrev_b32 v10, 2, v1
	ds_store_b32 v10, v11 offset:512
	s_wait_loadcnt_dscnt 0x0
	s_barrier_signal -1
	s_barrier_wait -1
	ds_load_b32 v11, v15 offset:512
	s_wait_dscnt 0x0
	v_cmp_lt_u32_e32 vcc_lo, 3, v11
	s_cbranch_vccnz .LBB12_58
; %bb.19:
	s_wait_kmcnt 0x0
	s_clause 0x2
	s_load_b128 s[12:15], s[0:1], 0x58
	s_load_b64 s[20:21], s[0:1], 0x28
	s_load_b64 s[22:23], s[0:1], 0x48
	v_dual_lshlrev_b32 v20, 3, v0 :: v_dual_bitop2_b32 v17, 3, v0 bitop3:0x40
	v_bfe_u32 v18, v0, 2, 2
	v_min_i32_e32 v28, v9, v7
	v_and_b32_e32 v7, 48, v0
	v_or_b32_e32 v16, 0x200, v10
	v_lshl_or_b32 v19, v1, 2, 0x210
	v_dual_lshlrev_b32 v10, 3, v17 :: v_dual_max_i32 v1, v18, v17
	s_delay_alu instid0(VALU_DEP_4)
	v_dual_lshlrev_b32 v9, 5, v18 :: v_dual_lshlrev_b32 v7, 3, v7
	v_dual_lshlrev_b32 v11, 5, v17 :: v_dual_lshlrev_b32 v22, 3, v18
	s_cmp_lg_u32 s8, 0
	s_wait_xcnt 0x0
	v_cmp_gt_i32_e64 s0, s11, v1
	v_or3_b32 v21, v7, v9, v10
	s_cselect_b32 s7, -1, 0
	v_or3_b32 v22, v7, v11, v22
	s_cmp_eq_u32 s8, 0
	v_cmp_gt_u32_e64 s1, 2, v0
	v_lshl_or_b32 v23, v0, 2, 0x200
	v_cmp_eq_u32_e64 s2, 0, v0
	s_cselect_b32 vcc_lo, -1, 0
	v_mov_b64_e32 v[0:1], 0
	v_dual_cndmask_b32 v24, v18, v17 :: v_dual_cndmask_b32 v25, v17, v18
	v_dual_cndmask_b32 v26, v21, v22 :: v_dual_mov_b32 v27, 1
	s_mul_i32 s8, s11, s11
	s_branch .LBB12_21
.LBB12_20:                              ;   in Loop: Header=BB12_21 Depth=1
	s_or_b32 exec_lo, exec_lo, s3
	s_wait_dscnt 0x0
	s_barrier_signal -1
	s_barrier_wait -1
	ds_load_b32 v7, v15 offset:512
	v_dual_add_nc_u32 v14, 1, v14 :: v_dual_mov_b32 v28, v9
	s_wait_dscnt 0x0
	v_cmp_gt_u32_e32 vcc_lo, 4, v7
	s_cbranch_vccz .LBB12_58
.LBB12_21:                              ; =>This Loop Header: Depth=1
                                        ;     Child Loop BB12_24 Depth 2
                                        ;     Child Loop BB12_39 Depth 2
	v_mov_b32_e32 v9, s10
	s_mov_b32 s9, exec_lo
	ds_store_b32 v19, v15
	ds_store_b64 v20, v[0:1]
	s_wait_dscnt 0x0
	s_barrier_signal -1
	s_barrier_wait -1
	v_cmpx_lt_i32_e64 v8, v12
	s_cbranch_execz .LBB12_36
; %bb.22:                               ;   in Loop: Header=BB12_21 Depth=1
	v_mul_lo_u32 v7, s11, v8
	v_dual_mov_b32 v30, 0 :: v_dual_ashrrev_i32 v9, 31, v8
	s_mov_b32 s24, 0
	s_delay_alu instid0(VALU_DEP_2) | instskip(NEXT) | instid1(VALU_DEP_1)
	v_dual_add_nc_u32 v10, v17, v7 :: v_dual_add_nc_u32 v11, v18, v7
	v_mad_u32 v7, s11, v10, v18
	s_delay_alu instid0(VALU_DEP_2)
	v_mad_u32 v29, s11, v11, v17
	v_lshl_add_u64 v[10:11], v[8:9], 2, s[16:17]
	v_mov_b32_e32 v9, s10
	s_branch .LBB12_24
.LBB12_23:                              ;   in Loop: Header=BB12_24 Depth=2
	s_or_b32 exec_lo, exec_lo, s26
	v_dual_mov_b32 v32, v8 :: v_dual_mov_b32 v8, v31
	s_and_b32 s3, exec_lo, s25
	s_delay_alu instid0(SALU_CYCLE_1) | instskip(NEXT) | instid1(SALU_CYCLE_1)
	s_or_b32 s24, s3, s24
	s_and_not1_b32 exec_lo, exec_lo, s24
	s_cbranch_execz .LBB12_35
.LBB12_24:                              ;   Parent Loop BB12_21 Depth=1
                                        ; =>  This Inner Loop Header: Depth=2
	global_load_b32 v31, v[10:11], off
	s_wait_loadcnt 0x0
	v_subrev_nc_u32_e32 v31, s4, v31
	s_delay_alu instid0(VALU_DEP_1) | instskip(SKIP_2) | instid1(SALU_CYCLE_1)
	v_cmp_le_i32_e64 s3, v31, v28
	s_wait_xcnt 0x0
	s_and_saveexec_b32 s25, s3
	s_xor_b32 s25, exec_lo, s25
	s_cbranch_execz .LBB12_31
; %bb.25:                               ;   in Loop: Header=BB12_24 Depth=2
	ds_store_b32 v19, v27
	s_and_saveexec_b32 s26, s0
	s_cbranch_execz .LBB12_30
; %bb.26:                               ;   in Loop: Header=BB12_24 Depth=2
	s_and_b32 vcc_lo, exec_lo, s7
	s_mov_b32 s27, -1
	s_cbranch_vccz .LBB12_28
; %bb.27:                               ;   in Loop: Header=BB12_24 Depth=2
	v_add_nc_u32_e32 v31, v29, v30
	s_mov_b32 s27, 0
	s_wait_kmcnt 0x0
	global_load_b64 v[32:33], v31, s[20:21] scale_offset
	s_wait_loadcnt 0x0
	v_mul_f64_e32 v[32:33], v[2:3], v[32:33]
	ds_store_b64 v21, v[32:33]
.LBB12_28:                              ;   in Loop: Header=BB12_24 Depth=2
	s_and_not1_b32 vcc_lo, exec_lo, s27
	s_cbranch_vccnz .LBB12_30
; %bb.29:                               ;   in Loop: Header=BB12_24 Depth=2
	s_wait_xcnt 0x0
	v_add_nc_u32_e32 v31, v7, v30
	s_wait_kmcnt 0x0
	global_load_b64 v[32:33], v31, s[20:21] scale_offset
	s_wait_loadcnt 0x0
	v_mul_f64_e32 v[32:33], v[2:3], v[32:33]
	ds_store_b64 v22, v[32:33]
.LBB12_30:                              ;   in Loop: Header=BB12_24 Depth=2
	s_wait_xcnt 0x0
	s_or_b32 exec_lo, exec_lo, s26
                                        ; implicit-def: $vgpr31
	s_and_not1_saveexec_b32 s25, s25
	s_branch .LBB12_32
.LBB12_31:                              ;   in Loop: Header=BB12_24 Depth=2
	s_and_not1_saveexec_b32 s25, s25
.LBB12_32:                              ;   in Loop: Header=BB12_24 Depth=2
	v_min_i32_e32 v9, v31, v9
; %bb.33:                               ;   in Loop: Header=BB12_24 Depth=2
	s_or_b32 exec_lo, exec_lo, s25
	s_mov_b32 s25, -1
                                        ; implicit-def: $vgpr31
	s_and_saveexec_b32 s26, s3
	s_cbranch_execz .LBB12_23
; %bb.34:                               ;   in Loop: Header=BB12_24 Depth=2
	v_dual_add_nc_u32 v31, 1, v8 :: v_dual_add_nc_u32 v30, s8, v30
	v_add_nc_u64_e32 v[10:11], 4, v[10:11]
	v_mov_b32_e32 v8, v12
	s_delay_alu instid0(VALU_DEP_3)
	v_cmp_ge_i32_e32 vcc_lo, v31, v12
	s_or_not1_b32 s25, vcc_lo, exec_lo
	s_branch .LBB12_23
.LBB12_35:                              ;   in Loop: Header=BB12_21 Depth=1
	s_or_b32 exec_lo, exec_lo, s24
	v_mov_b32_e32 v8, v32
.LBB12_36:                              ;   in Loop: Header=BB12_21 Depth=1
	s_or_b32 exec_lo, exec_lo, s9
	s_delay_alu instid0(SALU_CYCLE_1)
	s_mov_b32 s9, exec_lo
	s_wait_dscnt 0x0
	s_barrier_signal -1
	s_barrier_wait -1
	v_cmpx_lt_i32_e64 v6, v13
	s_cbranch_execz .LBB12_51
; %bb.37:                               ;   in Loop: Header=BB12_21 Depth=1
	v_mul_lo_u32 v7, s11, v6
	s_mov_b32 s24, 0
	s_delay_alu instid0(VALU_DEP_1) | instskip(NEXT) | instid1(VALU_DEP_1)
	v_dual_add_nc_u32 v10, v17, v7 :: v_dual_add_nc_u32 v7, v18, v7
	v_mad_u32 v29, s11, v10, v18
	s_delay_alu instid0(VALU_DEP_2) | instskip(SKIP_1) | instid1(VALU_DEP_1)
	v_mad_u32 v30, s11, v7, v17
	v_ashrrev_i32_e32 v7, 31, v6
	v_lshl_add_u64 v[10:11], v[6:7], 2, s[18:19]
	v_mov_b32_e32 v7, 0
	s_branch .LBB12_39
.LBB12_38:                              ;   in Loop: Header=BB12_39 Depth=2
	s_or_b32 exec_lo, exec_lo, s26
	v_dual_mov_b32 v32, v6 :: v_dual_mov_b32 v6, v31
	s_and_b32 s3, exec_lo, s25
	s_delay_alu instid0(SALU_CYCLE_1) | instskip(NEXT) | instid1(SALU_CYCLE_1)
	s_or_b32 s24, s3, s24
	s_and_not1_b32 exec_lo, exec_lo, s24
	s_cbranch_execz .LBB12_50
.LBB12_39:                              ;   Parent Loop BB12_21 Depth=1
                                        ; =>  This Inner Loop Header: Depth=2
	global_load_b32 v31, v[10:11], off
	s_wait_loadcnt 0x0
	v_subrev_nc_u32_e32 v31, s5, v31
	s_delay_alu instid0(VALU_DEP_1) | instskip(SKIP_2) | instid1(SALU_CYCLE_1)
	v_cmp_le_i32_e64 s3, v31, v28
	s_wait_xcnt 0x0
	s_and_saveexec_b32 s25, s3
	s_xor_b32 s25, exec_lo, s25
	s_cbranch_execz .LBB12_46
; %bb.40:                               ;   in Loop: Header=BB12_39 Depth=2
	ds_store_b32 v19, v27
	s_and_saveexec_b32 s26, s0
	s_cbranch_execz .LBB12_45
; %bb.41:                               ;   in Loop: Header=BB12_39 Depth=2
	s_and_b32 vcc_lo, exec_lo, s7
	s_mov_b32 s27, -1
	s_cbranch_vccz .LBB12_43
; %bb.42:                               ;   in Loop: Header=BB12_39 Depth=2
	v_add_nc_u32_e32 v31, v30, v7
	ds_load_b64 v[34:35], v21
	s_mov_b32 s27, 0
	s_wait_kmcnt 0x0
	global_load_b64 v[32:33], v31, s[22:23] scale_offset
	s_wait_loadcnt_dscnt 0x0
	v_fmac_f64_e32 v[34:35], v[4:5], v[32:33]
	ds_store_b64 v21, v[34:35]
.LBB12_43:                              ;   in Loop: Header=BB12_39 Depth=2
	s_and_not1_b32 vcc_lo, exec_lo, s27
	s_cbranch_vccnz .LBB12_45
; %bb.44:                               ;   in Loop: Header=BB12_39 Depth=2
	s_wait_xcnt 0x0
	v_add_nc_u32_e32 v31, v29, v7
	ds_load_b64 v[34:35], v22
	s_wait_kmcnt 0x0
	global_load_b64 v[32:33], v31, s[22:23] scale_offset
	s_wait_loadcnt_dscnt 0x0
	v_fmac_f64_e32 v[34:35], v[4:5], v[32:33]
	ds_store_b64 v22, v[34:35]
.LBB12_45:                              ;   in Loop: Header=BB12_39 Depth=2
	s_wait_xcnt 0x0
	s_or_b32 exec_lo, exec_lo, s26
                                        ; implicit-def: $vgpr31
	s_and_not1_saveexec_b32 s25, s25
	s_branch .LBB12_47
.LBB12_46:                              ;   in Loop: Header=BB12_39 Depth=2
	s_and_not1_saveexec_b32 s25, s25
.LBB12_47:                              ;   in Loop: Header=BB12_39 Depth=2
	v_min_i32_e32 v9, v31, v9
; %bb.48:                               ;   in Loop: Header=BB12_39 Depth=2
	s_or_b32 exec_lo, exec_lo, s25
	s_mov_b32 s25, -1
                                        ; implicit-def: $vgpr31
	s_and_saveexec_b32 s26, s3
	s_cbranch_execz .LBB12_38
; %bb.49:                               ;   in Loop: Header=BB12_39 Depth=2
	v_dual_add_nc_u32 v31, 1, v6 :: v_dual_add_nc_u32 v7, s8, v7
	v_add_nc_u64_e32 v[10:11], 4, v[10:11]
	v_mov_b32_e32 v6, v13
	s_delay_alu instid0(VALU_DEP_3)
	v_cmp_ge_i32_e32 vcc_lo, v31, v13
	s_or_not1_b32 s25, vcc_lo, exec_lo
	s_branch .LBB12_38
.LBB12_50:                              ;   in Loop: Header=BB12_21 Depth=1
	s_or_b32 exec_lo, exec_lo, s24
	v_mov_b32_e32 v6, v32
.LBB12_51:                              ;   in Loop: Header=BB12_21 Depth=1
	s_or_b32 exec_lo, exec_lo, s9
	s_wait_dscnt 0x0
	s_barrier_signal -1
	s_barrier_wait -1
	ds_load_b32 v7, v19
	s_mov_b32 s3, exec_lo
	s_wait_dscnt 0x0
	v_cmpx_ne_u32_e32 0, v7
	s_cbranch_execz .LBB12_54
; %bb.52:                               ;   in Loop: Header=BB12_21 Depth=1
	v_add_nc_u32_e32 v7, s6, v28
	s_wait_kmcnt 0x0
	global_store_b32 v14, v7, s[12:13] scale_offset
	s_wait_xcnt 0x0
	s_and_b32 exec_lo, exec_lo, s0
	s_cbranch_execz .LBB12_54
; %bb.53:                               ;   in Loop: Header=BB12_21 Depth=1
	v_mad_u32 v7, v14, s11, v24
	ds_load_b64 v[10:11], v26
	v_mad_u32 v7, v7, s11, v25
	s_wait_dscnt 0x0
	global_store_b64 v7, v[10:11], s[14:15] scale_offset
.LBB12_54:                              ;   in Loop: Header=BB12_21 Depth=1
	s_wait_xcnt 0x0
	s_or_b32 exec_lo, exec_lo, s3
	v_cmp_le_i32_e32 vcc_lo, s10, v9
	s_wait_storecnt 0x0
	s_barrier_signal -1
	s_barrier_wait -1
	v_cndmask_b32_e64 v7, 0, 1, vcc_lo
	s_barrier_signal -1
	s_barrier_wait -1
	ds_store_b32 v16, v7
	s_wait_dscnt 0x0
	s_barrier_signal -1
	s_barrier_wait -1
	s_and_saveexec_b32 s3, s1
	s_cbranch_execz .LBB12_56
; %bb.55:                               ;   in Loop: Header=BB12_21 Depth=1
	ds_load_2addr_b32 v[10:11], v23 offset1:2
	s_wait_dscnt 0x0
	v_add_nc_u32_e32 v7, v11, v10
	ds_store_b32 v23, v7
.LBB12_56:                              ;   in Loop: Header=BB12_21 Depth=1
	s_or_b32 exec_lo, exec_lo, s3
	s_wait_dscnt 0x0
	s_barrier_signal -1
	s_barrier_wait -1
	s_and_saveexec_b32 s3, s2
	s_cbranch_execz .LBB12_20
; %bb.57:                               ;   in Loop: Header=BB12_21 Depth=1
	ds_load_b64 v[10:11], v15 offset:512
	s_wait_dscnt 0x0
	v_add_nc_u32_e32 v7, v11, v10
	ds_store_b32 v15, v7 offset:512
	s_branch .LBB12_20
.LBB12_58:
	s_endpgm
	.section	.rodata,"a",@progbits
	.p2align	6, 0x0
	.amdhsa_kernel _ZN9rocsparseL35bsrgeam_wf_per_row_multipass_kernelILj64ELj4EdEEv20rocsparse_direction_iiiNS_24const_host_device_scalarIT1_EEPKiS6_PKS3_S4_S6_S6_S8_S6_PiPS3_21rocsparse_index_base_SB_SB_b
		.amdhsa_group_segment_fixed_size 544
		.amdhsa_private_segment_fixed_size 0
		.amdhsa_kernarg_size 120
		.amdhsa_user_sgpr_count 2
		.amdhsa_user_sgpr_dispatch_ptr 0
		.amdhsa_user_sgpr_queue_ptr 0
		.amdhsa_user_sgpr_kernarg_segment_ptr 1
		.amdhsa_user_sgpr_dispatch_id 0
		.amdhsa_user_sgpr_kernarg_preload_length 0
		.amdhsa_user_sgpr_kernarg_preload_offset 0
		.amdhsa_user_sgpr_private_segment_size 0
		.amdhsa_wavefront_size32 1
		.amdhsa_uses_dynamic_stack 0
		.amdhsa_enable_private_segment 0
		.amdhsa_system_sgpr_workgroup_id_x 1
		.amdhsa_system_sgpr_workgroup_id_y 0
		.amdhsa_system_sgpr_workgroup_id_z 0
		.amdhsa_system_sgpr_workgroup_info 0
		.amdhsa_system_vgpr_workitem_id 0
		.amdhsa_next_free_vgpr 36
		.amdhsa_next_free_sgpr 28
		.amdhsa_named_barrier_count 0
		.amdhsa_reserve_vcc 1
		.amdhsa_float_round_mode_32 0
		.amdhsa_float_round_mode_16_64 0
		.amdhsa_float_denorm_mode_32 3
		.amdhsa_float_denorm_mode_16_64 3
		.amdhsa_fp16_overflow 0
		.amdhsa_memory_ordered 1
		.amdhsa_forward_progress 1
		.amdhsa_inst_pref_size 15
		.amdhsa_round_robin_scheduling 0
		.amdhsa_exception_fp_ieee_invalid_op 0
		.amdhsa_exception_fp_denorm_src 0
		.amdhsa_exception_fp_ieee_div_zero 0
		.amdhsa_exception_fp_ieee_overflow 0
		.amdhsa_exception_fp_ieee_underflow 0
		.amdhsa_exception_fp_ieee_inexact 0
		.amdhsa_exception_int_div_zero 0
	.end_amdhsa_kernel
	.section	.text._ZN9rocsparseL35bsrgeam_wf_per_row_multipass_kernelILj64ELj4EdEEv20rocsparse_direction_iiiNS_24const_host_device_scalarIT1_EEPKiS6_PKS3_S4_S6_S6_S8_S6_PiPS3_21rocsparse_index_base_SB_SB_b,"axG",@progbits,_ZN9rocsparseL35bsrgeam_wf_per_row_multipass_kernelILj64ELj4EdEEv20rocsparse_direction_iiiNS_24const_host_device_scalarIT1_EEPKiS6_PKS3_S4_S6_S6_S8_S6_PiPS3_21rocsparse_index_base_SB_SB_b,comdat
.Lfunc_end12:
	.size	_ZN9rocsparseL35bsrgeam_wf_per_row_multipass_kernelILj64ELj4EdEEv20rocsparse_direction_iiiNS_24const_host_device_scalarIT1_EEPKiS6_PKS3_S4_S6_S6_S8_S6_PiPS3_21rocsparse_index_base_SB_SB_b, .Lfunc_end12-_ZN9rocsparseL35bsrgeam_wf_per_row_multipass_kernelILj64ELj4EdEEv20rocsparse_direction_iiiNS_24const_host_device_scalarIT1_EEPKiS6_PKS3_S4_S6_S6_S8_S6_PiPS3_21rocsparse_index_base_SB_SB_b
                                        ; -- End function
	.set _ZN9rocsparseL35bsrgeam_wf_per_row_multipass_kernelILj64ELj4EdEEv20rocsparse_direction_iiiNS_24const_host_device_scalarIT1_EEPKiS6_PKS3_S4_S6_S6_S8_S6_PiPS3_21rocsparse_index_base_SB_SB_b.num_vgpr, 36
	.set _ZN9rocsparseL35bsrgeam_wf_per_row_multipass_kernelILj64ELj4EdEEv20rocsparse_direction_iiiNS_24const_host_device_scalarIT1_EEPKiS6_PKS3_S4_S6_S6_S8_S6_PiPS3_21rocsparse_index_base_SB_SB_b.num_agpr, 0
	.set _ZN9rocsparseL35bsrgeam_wf_per_row_multipass_kernelILj64ELj4EdEEv20rocsparse_direction_iiiNS_24const_host_device_scalarIT1_EEPKiS6_PKS3_S4_S6_S6_S8_S6_PiPS3_21rocsparse_index_base_SB_SB_b.numbered_sgpr, 28
	.set _ZN9rocsparseL35bsrgeam_wf_per_row_multipass_kernelILj64ELj4EdEEv20rocsparse_direction_iiiNS_24const_host_device_scalarIT1_EEPKiS6_PKS3_S4_S6_S6_S8_S6_PiPS3_21rocsparse_index_base_SB_SB_b.num_named_barrier, 0
	.set _ZN9rocsparseL35bsrgeam_wf_per_row_multipass_kernelILj64ELj4EdEEv20rocsparse_direction_iiiNS_24const_host_device_scalarIT1_EEPKiS6_PKS3_S4_S6_S6_S8_S6_PiPS3_21rocsparse_index_base_SB_SB_b.private_seg_size, 0
	.set _ZN9rocsparseL35bsrgeam_wf_per_row_multipass_kernelILj64ELj4EdEEv20rocsparse_direction_iiiNS_24const_host_device_scalarIT1_EEPKiS6_PKS3_S4_S6_S6_S8_S6_PiPS3_21rocsparse_index_base_SB_SB_b.uses_vcc, 1
	.set _ZN9rocsparseL35bsrgeam_wf_per_row_multipass_kernelILj64ELj4EdEEv20rocsparse_direction_iiiNS_24const_host_device_scalarIT1_EEPKiS6_PKS3_S4_S6_S6_S8_S6_PiPS3_21rocsparse_index_base_SB_SB_b.uses_flat_scratch, 0
	.set _ZN9rocsparseL35bsrgeam_wf_per_row_multipass_kernelILj64ELj4EdEEv20rocsparse_direction_iiiNS_24const_host_device_scalarIT1_EEPKiS6_PKS3_S4_S6_S6_S8_S6_PiPS3_21rocsparse_index_base_SB_SB_b.has_dyn_sized_stack, 0
	.set _ZN9rocsparseL35bsrgeam_wf_per_row_multipass_kernelILj64ELj4EdEEv20rocsparse_direction_iiiNS_24const_host_device_scalarIT1_EEPKiS6_PKS3_S4_S6_S6_S8_S6_PiPS3_21rocsparse_index_base_SB_SB_b.has_recursion, 0
	.set _ZN9rocsparseL35bsrgeam_wf_per_row_multipass_kernelILj64ELj4EdEEv20rocsparse_direction_iiiNS_24const_host_device_scalarIT1_EEPKiS6_PKS3_S4_S6_S6_S8_S6_PiPS3_21rocsparse_index_base_SB_SB_b.has_indirect_call, 0
	.section	.AMDGPU.csdata,"",@progbits
; Kernel info:
; codeLenInByte = 1900
; TotalNumSgprs: 30
; NumVgprs: 36
; ScratchSize: 0
; MemoryBound: 0
; FloatMode: 240
; IeeeMode: 1
; LDSByteSize: 544 bytes/workgroup (compile time only)
; SGPRBlocks: 0
; VGPRBlocks: 2
; NumSGPRsForWavesPerEU: 30
; NumVGPRsForWavesPerEU: 36
; NamedBarCnt: 0
; Occupancy: 16
; WaveLimiterHint : 1
; COMPUTE_PGM_RSRC2:SCRATCH_EN: 0
; COMPUTE_PGM_RSRC2:USER_SGPR: 2
; COMPUTE_PGM_RSRC2:TRAP_HANDLER: 0
; COMPUTE_PGM_RSRC2:TGID_X_EN: 1
; COMPUTE_PGM_RSRC2:TGID_Y_EN: 0
; COMPUTE_PGM_RSRC2:TGID_Z_EN: 0
; COMPUTE_PGM_RSRC2:TIDIG_COMP_CNT: 0
	.section	.text._ZN9rocsparseL35bsrgeam_wf_per_row_multipass_kernelILj64ELj8EdEEv20rocsparse_direction_iiiNS_24const_host_device_scalarIT1_EEPKiS6_PKS3_S4_S6_S6_S8_S6_PiPS3_21rocsparse_index_base_SB_SB_b,"axG",@progbits,_ZN9rocsparseL35bsrgeam_wf_per_row_multipass_kernelILj64ELj8EdEEv20rocsparse_direction_iiiNS_24const_host_device_scalarIT1_EEPKiS6_PKS3_S4_S6_S6_S8_S6_PiPS3_21rocsparse_index_base_SB_SB_b,comdat
	.globl	_ZN9rocsparseL35bsrgeam_wf_per_row_multipass_kernelILj64ELj8EdEEv20rocsparse_direction_iiiNS_24const_host_device_scalarIT1_EEPKiS6_PKS3_S4_S6_S6_S8_S6_PiPS3_21rocsparse_index_base_SB_SB_b ; -- Begin function _ZN9rocsparseL35bsrgeam_wf_per_row_multipass_kernelILj64ELj8EdEEv20rocsparse_direction_iiiNS_24const_host_device_scalarIT1_EEPKiS6_PKS3_S4_S6_S6_S8_S6_PiPS3_21rocsparse_index_base_SB_SB_b
	.p2align	8
	.type	_ZN9rocsparseL35bsrgeam_wf_per_row_multipass_kernelILj64ELj8EdEEv20rocsparse_direction_iiiNS_24const_host_device_scalarIT1_EEPKiS6_PKS3_S4_S6_S6_S8_S6_PiPS3_21rocsparse_index_base_SB_SB_b,@function
_ZN9rocsparseL35bsrgeam_wf_per_row_multipass_kernelILj64ELj8EdEEv20rocsparse_direction_iiiNS_24const_host_device_scalarIT1_EEPKiS6_PKS3_S4_S6_S6_S8_S6_PiPS3_21rocsparse_index_base_SB_SB_b: ; @_ZN9rocsparseL35bsrgeam_wf_per_row_multipass_kernelILj64ELj8EdEEv20rocsparse_direction_iiiNS_24const_host_device_scalarIT1_EEPKiS6_PKS3_S4_S6_S6_S8_S6_PiPS3_21rocsparse_index_base_SB_SB_b
; %bb.0:
	s_clause 0x2
	s_load_b128 s[4:7], s[0:1], 0x68
	s_load_b64 s[2:3], s[0:1], 0x10
	s_load_b64 s[8:9], s[0:1], 0x30
	s_wait_kmcnt 0x0
	s_bitcmp1_b32 s7, 0
	v_mov_b64_e32 v[2:3], s[2:3]
	s_cselect_b32 s7, -1, 0
	s_delay_alu instid0(SALU_CYCLE_1)
	s_and_b32 vcc_lo, exec_lo, s7
	s_xor_b32 s7, s7, -1
	s_cbranch_vccnz .LBB13_2
; %bb.1:
	v_mov_b32_e32 v1, 0
	flat_load_b64 v[2:3], v1, s[2:3]
.LBB13_2:
	s_wait_xcnt 0x0
	s_load_b64 s[2:3], s[0:1], 0x18
	v_mov_b64_e32 v[4:5], s[8:9]
	s_and_not1_b32 vcc_lo, exec_lo, s7
	s_cbranch_vccnz .LBB13_4
; %bb.3:
	v_mov_b32_e32 v1, 0
	flat_load_b64 v[4:5], v1, s[8:9]
.LBB13_4:
	s_wait_xcnt 0x0
	s_load_b128 s[8:11], s[0:1], 0x0
	s_bfe_u32 s7, ttmp6, 0x4000c
	s_and_b32 s12, ttmp6, 15
	s_add_co_i32 s7, s7, 1
	s_getreg_b32 s13, hwreg(HW_REG_IB_STS2, 6, 4)
	s_mul_i32 s7, ttmp9, s7
	v_dual_mov_b32 v6, 0 :: v_dual_mov_b32 v8, 0
	s_add_co_i32 s12, s12, s7
	s_cmp_eq_u32 s13, 0
	s_cselect_b32 s12, ttmp9, s12
	s_delay_alu instid0(SALU_CYCLE_1)
	v_mov_b32_e32 v1, s12
	s_wait_kmcnt 0x0
	s_cmp_ge_i32 s12, s9
	s_cselect_b32 s7, -1, 0
	s_cmp_lt_i32 s12, s9
	s_cselect_b32 s9, -1, 0
	s_delay_alu instid0(SALU_CYCLE_1)
	s_and_saveexec_b32 s12, s9
	s_cbranch_execz .LBB13_6
; %bb.5:
	global_load_b32 v7, v1, s[2:3] scale_offset
	s_wait_loadcnt 0x0
	v_subrev_nc_u32_e32 v8, s4, v7
.LBB13_6:
	s_or_b32 exec_lo, exec_lo, s12
	s_load_b64 s[12:13], s[0:1], 0x38
	v_mov_b32_e32 v12, 0
	s_and_saveexec_b32 s14, s9
	s_cbranch_execz .LBB13_8
; %bb.7:
	global_load_b32 v7, v1, s[2:3] offset:4 scale_offset
	s_wait_loadcnt 0x0
	v_subrev_nc_u32_e32 v12, s4, v7
.LBB13_8:
	s_or_b32 exec_lo, exec_lo, s14
	s_and_saveexec_b32 s2, s9
	s_cbranch_execz .LBB13_10
; %bb.9:
	s_wait_kmcnt 0x0
	global_load_b32 v6, v1, s[12:13] scale_offset
	s_wait_loadcnt 0x0
	v_subrev_nc_u32_e32 v6, s5, v6
.LBB13_10:
	s_or_b32 exec_lo, exec_lo, s2
	v_dual_mov_b32 v14, 0 :: v_dual_mov_b32 v13, 0
	s_and_saveexec_b32 s2, s9
	s_cbranch_execz .LBB13_12
; %bb.11:
	s_wait_kmcnt 0x0
	global_load_b32 v7, v1, s[12:13] offset:4 scale_offset
	s_wait_loadcnt 0x0
	v_subrev_nc_u32_e32 v13, s5, v7
.LBB13_12:
	s_or_b32 exec_lo, exec_lo, s2
	s_and_saveexec_b32 s2, s9
	s_cbranch_execz .LBB13_14
; %bb.13:
	s_wait_kmcnt 0x0
	s_load_b64 s[12:13], s[0:1], 0x50
	s_wait_kmcnt 0x0
	global_load_b32 v1, v1, s[12:13] scale_offset
	s_wait_loadcnt 0x0
	v_subrev_nc_u32_e32 v14, s6, v1
.LBB13_14:
	s_or_b32 exec_lo, exec_lo, s2
	s_load_b64 s[2:3], s[0:1], 0x20
	v_mov_b32_e32 v1, s10
	s_mov_b32 s9, exec_lo
	v_cmpx_lt_i32_e64 v8, v12
	s_cbranch_execz .LBB13_16
; %bb.15:
	s_wait_kmcnt 0x0
	global_load_b32 v1, v8, s[2:3] scale_offset
	s_wait_loadcnt 0x0
	v_subrev_nc_u32_e32 v1, s4, v1
.LBB13_16:
	s_or_b32 exec_lo, exec_lo, s9
	s_load_b64 s[16:17], s[0:1], 0x40
	v_mov_b32_e32 v7, s10
	s_mov_b32 s9, exec_lo
	v_cmpx_lt_i32_e64 v6, v13
	s_cbranch_execz .LBB13_18
; %bb.17:
	s_wait_kmcnt 0x0
	global_load_b32 v7, v6, s[16:17] scale_offset
	s_wait_loadcnt 0x0
	v_subrev_nc_u32_e32 v7, s5, v7
.LBB13_18:
	s_or_b32 exec_lo, exec_lo, s9
	v_cndmask_b32_e64 v9, 0, 1, s7
	v_mov_b32_e32 v15, 0
	ds_store_b32 v15, v9 offset:512
	s_wait_loadcnt_dscnt 0x0
	s_barrier_signal -1
	s_barrier_wait -1
	ds_load_b32 v9, v15 offset:512
	s_wait_dscnt 0x0
	v_cmp_ne_u32_e32 vcc_lo, 0, v9
	s_cbranch_vccz .LBB13_20
.LBB13_19:
	s_endpgm
.LBB13_20:
	s_wait_kmcnt 0x0
	s_load_b128 s[12:15], s[0:1], 0x58
	v_dual_lshrrev_b32 v17, 3, v0 :: v_dual_bitop2_b32 v16, 7, v0 bitop3:0x40
	s_clause 0x1
	s_load_b64 s[18:19], s[0:1], 0x28
	s_load_b64 s[20:21], s[0:1], 0x48
	s_cmp_lg_u32 s8, 0
	v_dual_mov_b32 v18, 0x200 :: v_dual_min_i32 v9, v7, v1
	s_cselect_b32 s7, -1, 0
	s_cmp_eq_u32 s8, 0
	v_dual_mov_b32 v19, 0x204 :: v_dual_lshlrev_b32 v20, 3, v0
	v_dual_lshlrev_b32 v7, 3, v16 :: v_dual_max_i32 v1, v17, v16
	s_cselect_b32 vcc_lo, -1, 0
	s_delay_alu instid0(SALU_CYCLE_1) | instskip(SKIP_1) | instid1(VALU_DEP_2)
	v_dual_cndmask_b32 v24, v16, v17, vcc_lo :: v_dual_bitop2_b32 v0, 56, v0 bitop3:0x40
	s_wait_xcnt 0x0
	v_cmp_gt_i32_e64 s0, s11, v1
	v_lshl_or_b32 v21, v17, 6, v7
	v_dual_cndmask_b32 v23, v17, v16 :: v_dual_mov_b32 v26, 1
	v_lshl_or_b32 v22, v16, 6, v0
	v_mov_b64_e32 v[0:1], 0
	s_mul_i32 s8, s11, s11
	s_delay_alu instid0(VALU_DEP_2)
	v_cndmask_b32_e32 v25, v21, v22, vcc_lo
	s_branch .LBB13_22
.LBB13_21:                              ;   in Loop: Header=BB13_22 Depth=1
	s_wait_xcnt 0x0
	s_or_b32 exec_lo, exec_lo, s1
	v_cmp_le_i32_e32 vcc_lo, s10, v9
	s_wait_storecnt 0x0
	s_barrier_signal -1
	s_barrier_wait -1
	v_cndmask_b32_e64 v7, 0, 1, vcc_lo
	s_barrier_signal -1
	s_barrier_wait -1
	ds_store_b32 v18, v7
	s_wait_dscnt 0x0
	s_barrier_signal -1
	s_barrier_wait -1
	ds_load_b32 v7, v15 offset:512
	v_add_nc_u32_e32 v14, 1, v14
	s_wait_dscnt 0x0
	v_cmp_eq_u32_e32 vcc_lo, 0, v7
	s_cbranch_vccz .LBB13_19
.LBB13_22:                              ; =>This Loop Header: Depth=1
                                        ;     Child Loop BB13_25 Depth 2
                                        ;     Child Loop BB13_40 Depth 2
	v_dual_mov_b32 v27, v9 :: v_dual_mov_b32 v9, s10
	s_mov_b32 s9, exec_lo
	ds_store_b32 v19, v15
	ds_store_b64 v20, v[0:1]
	s_wait_dscnt 0x0
	s_barrier_signal -1
	s_barrier_wait -1
	v_cmpx_lt_i32_e64 v8, v12
	s_cbranch_execz .LBB13_37
; %bb.23:                               ;   in Loop: Header=BB13_22 Depth=1
	v_mul_lo_u32 v7, s11, v8
	v_dual_ashrrev_i32 v9, 31, v8 :: v_dual_mov_b32 v29, 0
	s_mov_b32 s22, 0
	s_delay_alu instid0(VALU_DEP_2) | instskip(NEXT) | instid1(VALU_DEP_1)
	v_dual_add_nc_u32 v10, v16, v7 :: v_dual_add_nc_u32 v11, v17, v7
	v_mad_u32 v7, s11, v10, v17
	s_delay_alu instid0(VALU_DEP_2)
	v_mad_u32 v28, s11, v11, v16
	v_lshl_add_u64 v[10:11], v[8:9], 2, s[2:3]
	v_mov_b32_e32 v9, s10
	s_branch .LBB13_25
.LBB13_24:                              ;   in Loop: Header=BB13_25 Depth=2
	s_or_b32 exec_lo, exec_lo, s24
	v_dual_mov_b32 v31, v8 :: v_dual_mov_b32 v8, v30
	s_and_b32 s1, exec_lo, s23
	s_delay_alu instid0(SALU_CYCLE_1) | instskip(NEXT) | instid1(SALU_CYCLE_1)
	s_or_b32 s22, s1, s22
	s_and_not1_b32 exec_lo, exec_lo, s22
	s_cbranch_execz .LBB13_36
.LBB13_25:                              ;   Parent Loop BB13_22 Depth=1
                                        ; =>  This Inner Loop Header: Depth=2
	global_load_b32 v30, v[10:11], off
	s_wait_loadcnt 0x0
	v_subrev_nc_u32_e32 v30, s4, v30
	s_delay_alu instid0(VALU_DEP_1) | instskip(SKIP_2) | instid1(SALU_CYCLE_1)
	v_cmp_le_i32_e64 s1, v30, v27
	s_wait_xcnt 0x0
	s_and_saveexec_b32 s23, s1
	s_xor_b32 s23, exec_lo, s23
	s_cbranch_execz .LBB13_32
; %bb.26:                               ;   in Loop: Header=BB13_25 Depth=2
	ds_store_b32 v19, v26
	s_and_saveexec_b32 s24, s0
	s_cbranch_execz .LBB13_31
; %bb.27:                               ;   in Loop: Header=BB13_25 Depth=2
	s_and_b32 vcc_lo, exec_lo, s7
	s_mov_b32 s25, -1
	s_cbranch_vccz .LBB13_29
; %bb.28:                               ;   in Loop: Header=BB13_25 Depth=2
	v_add_nc_u32_e32 v30, v28, v29
	s_mov_b32 s25, 0
	s_wait_kmcnt 0x0
	global_load_b64 v[30:31], v30, s[18:19] scale_offset
	s_wait_loadcnt 0x0
	s_wait_xcnt 0x0
	v_mul_f64_e32 v[30:31], v[2:3], v[30:31]
	ds_store_b64 v21, v[30:31]
.LBB13_29:                              ;   in Loop: Header=BB13_25 Depth=2
	s_and_not1_b32 vcc_lo, exec_lo, s25
	s_cbranch_vccnz .LBB13_31
; %bb.30:                               ;   in Loop: Header=BB13_25 Depth=2
	v_add_nc_u32_e32 v30, v7, v29
	s_wait_kmcnt 0x0
	global_load_b64 v[30:31], v30, s[18:19] scale_offset
	s_wait_loadcnt 0x0
	v_mul_f64_e32 v[30:31], v[2:3], v[30:31]
	ds_store_b64 v22, v[30:31]
.LBB13_31:                              ;   in Loop: Header=BB13_25 Depth=2
	s_or_b32 exec_lo, exec_lo, s24
                                        ; implicit-def: $vgpr30
	s_and_not1_saveexec_b32 s23, s23
	s_branch .LBB13_33
.LBB13_32:                              ;   in Loop: Header=BB13_25 Depth=2
	s_and_not1_saveexec_b32 s23, s23
.LBB13_33:                              ;   in Loop: Header=BB13_25 Depth=2
	v_min_i32_e32 v9, v30, v9
; %bb.34:                               ;   in Loop: Header=BB13_25 Depth=2
	s_or_b32 exec_lo, exec_lo, s23
	s_mov_b32 s23, -1
                                        ; implicit-def: $vgpr30
	s_and_saveexec_b32 s24, s1
	s_cbranch_execz .LBB13_24
; %bb.35:                               ;   in Loop: Header=BB13_25 Depth=2
	v_dual_add_nc_u32 v30, 1, v8 :: v_dual_add_nc_u32 v29, s8, v29
	v_add_nc_u64_e32 v[10:11], 4, v[10:11]
	v_mov_b32_e32 v8, v12
	s_delay_alu instid0(VALU_DEP_3)
	v_cmp_ge_i32_e32 vcc_lo, v30, v12
	s_or_not1_b32 s23, vcc_lo, exec_lo
	s_branch .LBB13_24
.LBB13_36:                              ;   in Loop: Header=BB13_22 Depth=1
	s_or_b32 exec_lo, exec_lo, s22
	v_mov_b32_e32 v8, v31
.LBB13_37:                              ;   in Loop: Header=BB13_22 Depth=1
	s_or_b32 exec_lo, exec_lo, s9
	s_delay_alu instid0(SALU_CYCLE_1)
	s_mov_b32 s9, exec_lo
	s_wait_dscnt 0x0
	s_barrier_signal -1
	s_barrier_wait -1
	v_cmpx_lt_i32_e64 v6, v13
	s_cbranch_execz .LBB13_52
; %bb.38:                               ;   in Loop: Header=BB13_22 Depth=1
	v_mul_lo_u32 v7, s11, v6
	s_mov_b32 s22, 0
	s_delay_alu instid0(VALU_DEP_1) | instskip(NEXT) | instid1(VALU_DEP_1)
	v_dual_add_nc_u32 v10, v16, v7 :: v_dual_add_nc_u32 v7, v17, v7
	v_mad_u32 v28, s11, v10, v17
	s_delay_alu instid0(VALU_DEP_2) | instskip(SKIP_1) | instid1(VALU_DEP_1)
	v_mad_u32 v29, s11, v7, v16
	v_ashrrev_i32_e32 v7, 31, v6
	v_lshl_add_u64 v[10:11], v[6:7], 2, s[16:17]
	v_mov_b32_e32 v7, 0
	s_branch .LBB13_40
.LBB13_39:                              ;   in Loop: Header=BB13_40 Depth=2
	s_or_b32 exec_lo, exec_lo, s24
	v_dual_mov_b32 v31, v6 :: v_dual_mov_b32 v6, v30
	s_and_b32 s1, exec_lo, s23
	s_delay_alu instid0(SALU_CYCLE_1) | instskip(NEXT) | instid1(SALU_CYCLE_1)
	s_or_b32 s22, s1, s22
	s_and_not1_b32 exec_lo, exec_lo, s22
	s_cbranch_execz .LBB13_51
.LBB13_40:                              ;   Parent Loop BB13_22 Depth=1
                                        ; =>  This Inner Loop Header: Depth=2
	global_load_b32 v30, v[10:11], off
	s_wait_loadcnt 0x0
	v_subrev_nc_u32_e32 v30, s5, v30
	s_delay_alu instid0(VALU_DEP_1) | instskip(SKIP_2) | instid1(SALU_CYCLE_1)
	v_cmp_le_i32_e64 s1, v30, v27
	s_wait_xcnt 0x0
	s_and_saveexec_b32 s23, s1
	s_xor_b32 s23, exec_lo, s23
	s_cbranch_execz .LBB13_47
; %bb.41:                               ;   in Loop: Header=BB13_40 Depth=2
	ds_store_b32 v19, v26
	s_and_saveexec_b32 s24, s0
	s_cbranch_execz .LBB13_46
; %bb.42:                               ;   in Loop: Header=BB13_40 Depth=2
	s_and_b32 vcc_lo, exec_lo, s7
	s_mov_b32 s25, -1
	s_cbranch_vccz .LBB13_44
; %bb.43:                               ;   in Loop: Header=BB13_40 Depth=2
	v_add_nc_u32_e32 v30, v29, v7
	ds_load_b64 v[32:33], v21
	s_mov_b32 s25, 0
	s_wait_kmcnt 0x0
	global_load_b64 v[30:31], v30, s[20:21] scale_offset
	s_wait_loadcnt_dscnt 0x0
	v_fmac_f64_e32 v[32:33], v[4:5], v[30:31]
	ds_store_b64 v21, v[32:33]
.LBB13_44:                              ;   in Loop: Header=BB13_40 Depth=2
	s_and_not1_b32 vcc_lo, exec_lo, s25
	s_cbranch_vccnz .LBB13_46
; %bb.45:                               ;   in Loop: Header=BB13_40 Depth=2
	s_wait_xcnt 0x0
	v_add_nc_u32_e32 v30, v28, v7
	ds_load_b64 v[32:33], v22
	s_wait_kmcnt 0x0
	global_load_b64 v[30:31], v30, s[20:21] scale_offset
	s_wait_loadcnt_dscnt 0x0
	v_fmac_f64_e32 v[32:33], v[4:5], v[30:31]
	ds_store_b64 v22, v[32:33]
.LBB13_46:                              ;   in Loop: Header=BB13_40 Depth=2
	s_wait_xcnt 0x0
	s_or_b32 exec_lo, exec_lo, s24
                                        ; implicit-def: $vgpr30
	s_and_not1_saveexec_b32 s23, s23
	s_branch .LBB13_48
.LBB13_47:                              ;   in Loop: Header=BB13_40 Depth=2
	s_and_not1_saveexec_b32 s23, s23
.LBB13_48:                              ;   in Loop: Header=BB13_40 Depth=2
	v_min_i32_e32 v9, v30, v9
; %bb.49:                               ;   in Loop: Header=BB13_40 Depth=2
	s_or_b32 exec_lo, exec_lo, s23
	s_mov_b32 s23, -1
                                        ; implicit-def: $vgpr30
	s_and_saveexec_b32 s24, s1
	s_cbranch_execz .LBB13_39
; %bb.50:                               ;   in Loop: Header=BB13_40 Depth=2
	v_dual_add_nc_u32 v30, 1, v6 :: v_dual_add_nc_u32 v7, s8, v7
	v_add_nc_u64_e32 v[10:11], 4, v[10:11]
	v_mov_b32_e32 v6, v13
	s_delay_alu instid0(VALU_DEP_3)
	v_cmp_ge_i32_e32 vcc_lo, v30, v13
	s_or_not1_b32 s23, vcc_lo, exec_lo
	s_branch .LBB13_39
.LBB13_51:                              ;   in Loop: Header=BB13_22 Depth=1
	s_or_b32 exec_lo, exec_lo, s22
	v_mov_b32_e32 v6, v31
.LBB13_52:                              ;   in Loop: Header=BB13_22 Depth=1
	s_or_b32 exec_lo, exec_lo, s9
	s_wait_dscnt 0x0
	s_barrier_signal -1
	s_barrier_wait -1
	ds_load_b32 v7, v19
	s_mov_b32 s1, exec_lo
	s_wait_dscnt 0x0
	v_cmpx_ne_u32_e32 0, v7
	s_cbranch_execz .LBB13_21
; %bb.53:                               ;   in Loop: Header=BB13_22 Depth=1
	v_add_nc_u32_e32 v7, s6, v27
	s_wait_kmcnt 0x0
	global_store_b32 v14, v7, s[12:13] scale_offset
	s_wait_xcnt 0x0
	s_and_b32 exec_lo, exec_lo, s0
	s_cbranch_execz .LBB13_21
; %bb.54:                               ;   in Loop: Header=BB13_22 Depth=1
	v_mad_u32 v7, v14, s11, v23
	ds_load_b64 v[10:11], v25
	v_mad_u32 v7, v7, s11, v24
	s_wait_dscnt 0x0
	global_store_b64 v7, v[10:11], s[14:15] scale_offset
	s_branch .LBB13_21
	.section	.rodata,"a",@progbits
	.p2align	6, 0x0
	.amdhsa_kernel _ZN9rocsparseL35bsrgeam_wf_per_row_multipass_kernelILj64ELj8EdEEv20rocsparse_direction_iiiNS_24const_host_device_scalarIT1_EEPKiS6_PKS3_S4_S6_S6_S8_S6_PiPS3_21rocsparse_index_base_SB_SB_b
		.amdhsa_group_segment_fixed_size 520
		.amdhsa_private_segment_fixed_size 0
		.amdhsa_kernarg_size 120
		.amdhsa_user_sgpr_count 2
		.amdhsa_user_sgpr_dispatch_ptr 0
		.amdhsa_user_sgpr_queue_ptr 0
		.amdhsa_user_sgpr_kernarg_segment_ptr 1
		.amdhsa_user_sgpr_dispatch_id 0
		.amdhsa_user_sgpr_kernarg_preload_length 0
		.amdhsa_user_sgpr_kernarg_preload_offset 0
		.amdhsa_user_sgpr_private_segment_size 0
		.amdhsa_wavefront_size32 1
		.amdhsa_uses_dynamic_stack 0
		.amdhsa_enable_private_segment 0
		.amdhsa_system_sgpr_workgroup_id_x 1
		.amdhsa_system_sgpr_workgroup_id_y 0
		.amdhsa_system_sgpr_workgroup_id_z 0
		.amdhsa_system_sgpr_workgroup_info 0
		.amdhsa_system_vgpr_workitem_id 0
		.amdhsa_next_free_vgpr 34
		.amdhsa_next_free_sgpr 26
		.amdhsa_named_barrier_count 0
		.amdhsa_reserve_vcc 1
		.amdhsa_float_round_mode_32 0
		.amdhsa_float_round_mode_16_64 0
		.amdhsa_float_denorm_mode_32 3
		.amdhsa_float_denorm_mode_16_64 3
		.amdhsa_fp16_overflow 0
		.amdhsa_memory_ordered 1
		.amdhsa_forward_progress 1
		.amdhsa_inst_pref_size 14
		.amdhsa_round_robin_scheduling 0
		.amdhsa_exception_fp_ieee_invalid_op 0
		.amdhsa_exception_fp_denorm_src 0
		.amdhsa_exception_fp_ieee_div_zero 0
		.amdhsa_exception_fp_ieee_overflow 0
		.amdhsa_exception_fp_ieee_underflow 0
		.amdhsa_exception_fp_ieee_inexact 0
		.amdhsa_exception_int_div_zero 0
	.end_amdhsa_kernel
	.section	.text._ZN9rocsparseL35bsrgeam_wf_per_row_multipass_kernelILj64ELj8EdEEv20rocsparse_direction_iiiNS_24const_host_device_scalarIT1_EEPKiS6_PKS3_S4_S6_S6_S8_S6_PiPS3_21rocsparse_index_base_SB_SB_b,"axG",@progbits,_ZN9rocsparseL35bsrgeam_wf_per_row_multipass_kernelILj64ELj8EdEEv20rocsparse_direction_iiiNS_24const_host_device_scalarIT1_EEPKiS6_PKS3_S4_S6_S6_S8_S6_PiPS3_21rocsparse_index_base_SB_SB_b,comdat
.Lfunc_end13:
	.size	_ZN9rocsparseL35bsrgeam_wf_per_row_multipass_kernelILj64ELj8EdEEv20rocsparse_direction_iiiNS_24const_host_device_scalarIT1_EEPKiS6_PKS3_S4_S6_S6_S8_S6_PiPS3_21rocsparse_index_base_SB_SB_b, .Lfunc_end13-_ZN9rocsparseL35bsrgeam_wf_per_row_multipass_kernelILj64ELj8EdEEv20rocsparse_direction_iiiNS_24const_host_device_scalarIT1_EEPKiS6_PKS3_S4_S6_S6_S8_S6_PiPS3_21rocsparse_index_base_SB_SB_b
                                        ; -- End function
	.set _ZN9rocsparseL35bsrgeam_wf_per_row_multipass_kernelILj64ELj8EdEEv20rocsparse_direction_iiiNS_24const_host_device_scalarIT1_EEPKiS6_PKS3_S4_S6_S6_S8_S6_PiPS3_21rocsparse_index_base_SB_SB_b.num_vgpr, 34
	.set _ZN9rocsparseL35bsrgeam_wf_per_row_multipass_kernelILj64ELj8EdEEv20rocsparse_direction_iiiNS_24const_host_device_scalarIT1_EEPKiS6_PKS3_S4_S6_S6_S8_S6_PiPS3_21rocsparse_index_base_SB_SB_b.num_agpr, 0
	.set _ZN9rocsparseL35bsrgeam_wf_per_row_multipass_kernelILj64ELj8EdEEv20rocsparse_direction_iiiNS_24const_host_device_scalarIT1_EEPKiS6_PKS3_S4_S6_S6_S8_S6_PiPS3_21rocsparse_index_base_SB_SB_b.numbered_sgpr, 26
	.set _ZN9rocsparseL35bsrgeam_wf_per_row_multipass_kernelILj64ELj8EdEEv20rocsparse_direction_iiiNS_24const_host_device_scalarIT1_EEPKiS6_PKS3_S4_S6_S6_S8_S6_PiPS3_21rocsparse_index_base_SB_SB_b.num_named_barrier, 0
	.set _ZN9rocsparseL35bsrgeam_wf_per_row_multipass_kernelILj64ELj8EdEEv20rocsparse_direction_iiiNS_24const_host_device_scalarIT1_EEPKiS6_PKS3_S4_S6_S6_S8_S6_PiPS3_21rocsparse_index_base_SB_SB_b.private_seg_size, 0
	.set _ZN9rocsparseL35bsrgeam_wf_per_row_multipass_kernelILj64ELj8EdEEv20rocsparse_direction_iiiNS_24const_host_device_scalarIT1_EEPKiS6_PKS3_S4_S6_S6_S8_S6_PiPS3_21rocsparse_index_base_SB_SB_b.uses_vcc, 1
	.set _ZN9rocsparseL35bsrgeam_wf_per_row_multipass_kernelILj64ELj8EdEEv20rocsparse_direction_iiiNS_24const_host_device_scalarIT1_EEPKiS6_PKS3_S4_S6_S6_S8_S6_PiPS3_21rocsparse_index_base_SB_SB_b.uses_flat_scratch, 0
	.set _ZN9rocsparseL35bsrgeam_wf_per_row_multipass_kernelILj64ELj8EdEEv20rocsparse_direction_iiiNS_24const_host_device_scalarIT1_EEPKiS6_PKS3_S4_S6_S6_S8_S6_PiPS3_21rocsparse_index_base_SB_SB_b.has_dyn_sized_stack, 0
	.set _ZN9rocsparseL35bsrgeam_wf_per_row_multipass_kernelILj64ELj8EdEEv20rocsparse_direction_iiiNS_24const_host_device_scalarIT1_EEPKiS6_PKS3_S4_S6_S6_S8_S6_PiPS3_21rocsparse_index_base_SB_SB_b.has_recursion, 0
	.set _ZN9rocsparseL35bsrgeam_wf_per_row_multipass_kernelILj64ELj8EdEEv20rocsparse_direction_iiiNS_24const_host_device_scalarIT1_EEPKiS6_PKS3_S4_S6_S6_S8_S6_PiPS3_21rocsparse_index_base_SB_SB_b.has_indirect_call, 0
	.section	.AMDGPU.csdata,"",@progbits
; Kernel info:
; codeLenInByte = 1756
; TotalNumSgprs: 28
; NumVgprs: 34
; ScratchSize: 0
; MemoryBound: 0
; FloatMode: 240
; IeeeMode: 1
; LDSByteSize: 520 bytes/workgroup (compile time only)
; SGPRBlocks: 0
; VGPRBlocks: 2
; NumSGPRsForWavesPerEU: 28
; NumVGPRsForWavesPerEU: 34
; NamedBarCnt: 0
; Occupancy: 16
; WaveLimiterHint : 1
; COMPUTE_PGM_RSRC2:SCRATCH_EN: 0
; COMPUTE_PGM_RSRC2:USER_SGPR: 2
; COMPUTE_PGM_RSRC2:TRAP_HANDLER: 0
; COMPUTE_PGM_RSRC2:TGID_X_EN: 1
; COMPUTE_PGM_RSRC2:TGID_Y_EN: 0
; COMPUTE_PGM_RSRC2:TGID_Z_EN: 0
; COMPUTE_PGM_RSRC2:TIDIG_COMP_CNT: 0
	.section	.text._ZN9rocsparseL39bsrgeam_block_per_row_multipass_kernel2ILj256ELj16EdEEv20rocsparse_direction_iiiNS_24const_host_device_scalarIT1_EEPKiS6_PKS3_S4_S6_S6_S8_S6_PiPS3_21rocsparse_index_base_SB_SB_b,"axG",@progbits,_ZN9rocsparseL39bsrgeam_block_per_row_multipass_kernel2ILj256ELj16EdEEv20rocsparse_direction_iiiNS_24const_host_device_scalarIT1_EEPKiS6_PKS3_S4_S6_S6_S8_S6_PiPS3_21rocsparse_index_base_SB_SB_b,comdat
	.globl	_ZN9rocsparseL39bsrgeam_block_per_row_multipass_kernel2ILj256ELj16EdEEv20rocsparse_direction_iiiNS_24const_host_device_scalarIT1_EEPKiS6_PKS3_S4_S6_S6_S8_S6_PiPS3_21rocsparse_index_base_SB_SB_b ; -- Begin function _ZN9rocsparseL39bsrgeam_block_per_row_multipass_kernel2ILj256ELj16EdEEv20rocsparse_direction_iiiNS_24const_host_device_scalarIT1_EEPKiS6_PKS3_S4_S6_S6_S8_S6_PiPS3_21rocsparse_index_base_SB_SB_b
	.p2align	8
	.type	_ZN9rocsparseL39bsrgeam_block_per_row_multipass_kernel2ILj256ELj16EdEEv20rocsparse_direction_iiiNS_24const_host_device_scalarIT1_EEPKiS6_PKS3_S4_S6_S6_S8_S6_PiPS3_21rocsparse_index_base_SB_SB_b,@function
_ZN9rocsparseL39bsrgeam_block_per_row_multipass_kernel2ILj256ELj16EdEEv20rocsparse_direction_iiiNS_24const_host_device_scalarIT1_EEPKiS6_PKS3_S4_S6_S6_S8_S6_PiPS3_21rocsparse_index_base_SB_SB_b: ; @_ZN9rocsparseL39bsrgeam_block_per_row_multipass_kernel2ILj256ELj16EdEEv20rocsparse_direction_iiiNS_24const_host_device_scalarIT1_EEPKiS6_PKS3_S4_S6_S6_S8_S6_PiPS3_21rocsparse_index_base_SB_SB_b
; %bb.0:
	s_clause 0x2
	s_load_b128 s[4:7], s[0:1], 0x68
	s_load_b64 s[2:3], s[0:1], 0x10
	s_load_b64 s[12:13], s[0:1], 0x30
	s_wait_kmcnt 0x0
	s_bitcmp1_b32 s7, 0
	v_mov_b64_e32 v[2:3], s[2:3]
	s_cselect_b32 s7, -1, 0
	s_delay_alu instid0(SALU_CYCLE_1)
	s_and_b32 vcc_lo, exec_lo, s7
	s_xor_b32 s7, s7, -1
	s_cbranch_vccnz .LBB14_2
; %bb.1:
	v_mov_b32_e32 v1, 0
	flat_load_b64 v[2:3], v1, s[2:3]
.LBB14_2:
	s_clause 0x2
	s_load_b64 s[8:9], s[0:1], 0x50
	s_load_b64 s[10:11], s[0:1], 0x18
	s_load_b64 s[2:3], s[0:1], 0x38
	v_mov_b64_e32 v[4:5], s[12:13]
	s_and_not1_b32 vcc_lo, exec_lo, s7
	s_cbranch_vccnz .LBB14_4
; %bb.3:
	v_mov_b32_e32 v1, 0
	flat_load_b64 v[4:5], v1, s[12:13]
.LBB14_4:
	s_bfe_u32 s7, ttmp6, 0x4000c
	s_wait_xcnt 0x0
	s_and_b32 s12, ttmp6, 15
	s_add_co_i32 s7, s7, 1
	s_getreg_b32 s13, hwreg(HW_REG_IB_STS2, 6, 4)
	s_mul_i32 s7, ttmp9, s7
	s_delay_alu instid0(SALU_CYCLE_1) | instskip(SKIP_2) | instid1(SALU_CYCLE_1)
	s_add_co_i32 s12, s12, s7
	s_cmp_eq_u32 s13, 0
	s_cselect_b32 s12, ttmp9, s12
	s_ashr_i32 s13, s12, 31
	s_delay_alu instid0(SALU_CYCLE_1)
	s_lshl_b64 s[12:13], s[12:13], 2
	s_wait_kmcnt 0x0
	s_add_nc_u64 s[10:11], s[10:11], s[12:13]
	s_add_nc_u64 s[22:23], s[8:9], s[12:13]
	s_load_b64 s[24:25], s[10:11], 0x0
	s_wait_xcnt 0x0
	s_add_nc_u64 s[10:11], s[2:3], s[12:13]
	s_clause 0x1
	s_load_b64 s[2:3], s[0:1], 0x8
	s_load_b64 s[16:17], s[0:1], 0x20
	s_load_b64 s[26:27], s[10:11], 0x0
	s_wait_kmcnt 0x0
	s_mov_b32 s19, s2
	s_sub_co_i32 s18, s24, s4
	s_cmp_ge_i32 s24, s25
	s_cbranch_scc1 .LBB14_6
; %bb.5:
	s_ashr_i32 s19, s18, 31
	s_delay_alu instid0(SALU_CYCLE_1) | instskip(NEXT) | instid1(SALU_CYCLE_1)
	s_lshl_b64 s[8:9], s[18:19], 2
	s_add_nc_u64 s[8:9], s[16:17], s[8:9]
	s_load_b32 s7, s[8:9], 0x0
	s_wait_kmcnt 0x0
	s_sub_co_i32 s19, s7, s4
.LBB14_6:
	s_clause 0x2
	s_load_b128 s[8:11], s[0:1], 0x58
	s_load_b64 s[20:21], s[0:1], 0x28
	s_load_b128 s[12:15], s[0:1], 0x40
	s_load_b32 s28, s[22:23], 0x0
	s_wait_xcnt 0x0
	s_sub_co_i32 s22, s26, s5
	s_cmp_ge_i32 s26, s27
	s_mov_b32 s23, s2
	s_cbranch_scc1 .LBB14_8
; %bb.7:
	s_ashr_i32 s23, s22, 31
	s_delay_alu instid0(SALU_CYCLE_1)
	s_lshl_b64 s[30:31], s[22:23], 2
	s_wait_kmcnt 0x0
	s_add_nc_u64 s[30:31], s[12:13], s[30:31]
	s_load_b32 s7, s[30:31], 0x0
	s_wait_kmcnt 0x0
	s_sub_co_i32 s23, s7, s5
.LBB14_8:
	s_load_b32 s1, s[0:1], 0x0
	v_dual_lshrrev_b32 v7, 4, v0 :: v_dual_bitop2_b32 v6, 15, v0 bitop3:0x40
	s_sub_co_i32 s7, s25, s4
	s_wait_kmcnt 0x0
	s_sub_co_i32 s25, s28, s6
	v_dual_mov_b32 v9, 0 :: v_dual_lshlrev_b32 v8, 3, v0
	v_dual_lshlrev_b32 v12, 3, v7 :: v_dual_lshlrev_b32 v13, 7, v6
	v_cmp_gt_u32_e32 vcc_lo, s3, v6
	v_cmp_gt_i32_e64 s0, s3, v7
	v_mov_b64_e32 v[0:1], 0
	s_sub_co_i32 s24, s27, s5
	s_min_i32 s28, s23, s19
	v_dual_mov_b32 v10, 1 :: v_dual_mov_b32 v11, s25
	s_and_b32 s25, vcc_lo, s0
	v_add_nc_u32_e32 v12, v12, v13
	s_mul_i32 s27, s3, s3
	s_cmp_lg_u32 s1, 0
	s_cselect_b32 s26, -1, 0
	s_branch .LBB14_11
.LBB14_9:                               ;   in Loop: Header=BB14_11 Depth=1
	s_wait_xcnt 0x0
	s_or_b32 exec_lo, exec_lo, s0
.LBB14_10:                              ;   in Loop: Header=BB14_11 Depth=1
	s_wait_storecnt 0x0
	s_barrier_signal -1
	s_barrier_wait -1
	ds_load_b32 v13, v9 offset:2048
	s_cmp_lt_i32 s23, s2
	s_mov_b32 s28, s23
	s_wait_dscnt 0x0
	s_barrier_signal -1
	s_barrier_wait -1
	v_add_nc_u32_e32 v11, v13, v11
	s_cbranch_scc0 .LBB14_49
.LBB14_11:                              ; =>This Loop Header: Depth=1
                                        ;     Child Loop BB14_13 Depth 2
                                        ;     Child Loop BB14_29 Depth 2
	s_cmp_ge_i32 s18, s7
	ds_store_b32 v9, v9 offset:2048
	ds_store_b64 v8, v[0:1]
	s_wait_loadcnt_dscnt 0x0
	s_barrier_signal -1
	s_barrier_wait -1
	s_cbranch_scc1 .LBB14_26
; %bb.12:                               ;   in Loop: Header=BB14_11 Depth=1
	s_wait_xcnt 0x0
	s_mul_i32 s0, s3, s18
	s_ashr_i32 s19, s18, 31
	v_dual_add_nc_u32 v13, s0, v7 :: v_dual_add_nc_u32 v14, s0, v6
	s_lshl_b64 s[0:1], s[18:19], 2
	s_mov_b32 s23, 0
	s_add_nc_u64 s[0:1], s[16:17], s[0:1]
	s_delay_alu instid0(VALU_DEP_1)
	v_mad_u32 v13, s3, v13, v6
	v_mad_u32 v14, s3, v14, v7
	s_mov_b32 s29, s2
.LBB14_13:                              ;   Parent Loop BB14_11 Depth=1
                                        ; =>  This Inner Loop Header: Depth=2
	s_load_b32 s19, s[0:1], 0x0
	s_mov_b32 s31, -1
	s_wait_kmcnt 0x0
	s_sub_co_i32 s33, s19, s4
                                        ; implicit-def: $sgpr19
	s_delay_alu instid0(SALU_CYCLE_1)
	s_cmp_eq_u32 s33, s28
	s_cselect_b32 s30, -1, 0
	s_cmp_lg_u32 s33, s28
	s_cbranch_scc1 .LBB14_17
; %bb.14:                               ;   in Loop: Header=BB14_13 Depth=2
	s_and_not1_b32 vcc_lo, exec_lo, s31
	s_cbranch_vccz .LBB14_18
.LBB14_15:                              ;   in Loop: Header=BB14_13 Depth=2
	s_and_not1_b32 vcc_lo, exec_lo, s30
	s_mov_b32 s29, -1
	s_cbranch_vccnz .LBB14_23
.LBB14_16:                              ;   in Loop: Header=BB14_13 Depth=2
	s_add_co_i32 s18, s18, 1
	s_add_co_i32 s23, s23, s27
	s_cmp_ge_i32 s18, s7
	s_wait_xcnt 0x0
	s_add_nc_u64 s[0:1], s[0:1], 4
	s_cselect_b32 s29, -1, 0
	s_delay_alu instid0(SALU_CYCLE_1)
	s_and_not1_b32 vcc_lo, exec_lo, s29
	s_cbranch_vccnz .LBB14_24
	s_branch .LBB14_27
.LBB14_17:                              ;   in Loop: Header=BB14_13 Depth=2
	s_min_i32 s19, s33, s29
	s_cbranch_execnz .LBB14_15
.LBB14_18:                              ;   in Loop: Header=BB14_13 Depth=2
	ds_store_b32 v9, v10 offset:2048
	s_and_saveexec_b32 s19, s25
	s_cbranch_execz .LBB14_22
; %bb.19:                               ;   in Loop: Header=BB14_13 Depth=2
	s_and_b32 vcc_lo, exec_lo, s26
	s_cbranch_vccz .LBB14_25
; %bb.20:                               ;   in Loop: Header=BB14_13 Depth=2
	v_add_nc_u32_e32 v15, s23, v14
	global_load_b64 v[16:17], v15, s[20:21] scale_offset
	s_wait_loadcnt 0x0
	v_mul_f64_e32 v[16:17], v[2:3], v[16:17]
	ds_store_b64 v12, v[16:17]
	s_cbranch_execnz .LBB14_22
.LBB14_21:                              ;   in Loop: Header=BB14_13 Depth=2
	s_wait_xcnt 0x0
	v_add_nc_u32_e32 v15, s23, v13
	global_load_b64 v[16:17], v15, s[20:21] scale_offset
	s_wait_loadcnt 0x0
	v_mul_f64_e32 v[16:17], v[2:3], v[16:17]
	ds_store_b64 v8, v[16:17]
.LBB14_22:                              ;   in Loop: Header=BB14_13 Depth=2
	s_wait_xcnt 0x0
	s_or_b32 exec_lo, exec_lo, s19
	s_mov_b32 s19, s29
	s_and_not1_b32 vcc_lo, exec_lo, s30
	s_mov_b32 s29, -1
	s_cbranch_vccz .LBB14_16
.LBB14_23:                              ;   in Loop: Header=BB14_13 Depth=2
                                        ; implicit-def: $sgpr23
                                        ; implicit-def: $sgpr0_sgpr1
	s_and_not1_b32 vcc_lo, exec_lo, s29
	s_cbranch_vccz .LBB14_27
.LBB14_24:                              ;   in Loop: Header=BB14_13 Depth=2
	s_mov_b32 s29, s19
	s_branch .LBB14_13
.LBB14_25:                              ;   in Loop: Header=BB14_13 Depth=2
	s_branch .LBB14_21
.LBB14_26:                              ;   in Loop: Header=BB14_11 Depth=1
	s_mov_b32 s19, s2
.LBB14_27:                              ;   in Loop: Header=BB14_11 Depth=1
	s_cmp_ge_i32 s22, s24
	s_wait_dscnt 0x0
	s_barrier_signal -1
	s_barrier_wait -1
	s_cbranch_scc1 .LBB14_42
; %bb.28:                               ;   in Loop: Header=BB14_11 Depth=1
	s_wait_xcnt 0x0
	s_mul_i32 s0, s3, s22
	s_ashr_i32 s23, s22, 31
	v_dual_add_nc_u32 v13, s0, v7 :: v_dual_add_nc_u32 v14, s0, v6
	s_lshl_b64 s[0:1], s[22:23], 2
	s_mov_b32 s29, 0
	s_add_nc_u64 s[0:1], s[12:13], s[0:1]
	s_delay_alu instid0(VALU_DEP_1)
	v_mad_u32 v13, s3, v13, v6
	v_mad_u32 v14, s3, v14, v7
.LBB14_29:                              ;   Parent Loop BB14_11 Depth=1
                                        ; =>  This Inner Loop Header: Depth=2
	s_load_b32 s23, s[0:1], 0x0
	s_mov_b32 s31, -1
	s_wait_kmcnt 0x0
	s_sub_co_i32 s33, s23, s5
                                        ; implicit-def: $sgpr23
	s_delay_alu instid0(SALU_CYCLE_1)
	s_cmp_eq_u32 s33, s28
	s_cselect_b32 s30, -1, 0
	s_cmp_lg_u32 s33, s28
	s_cbranch_scc1 .LBB14_33
; %bb.30:                               ;   in Loop: Header=BB14_29 Depth=2
	s_and_not1_b32 vcc_lo, exec_lo, s31
	s_cbranch_vccz .LBB14_34
.LBB14_31:                              ;   in Loop: Header=BB14_29 Depth=2
	s_and_not1_b32 vcc_lo, exec_lo, s30
	s_mov_b32 s19, -1
	s_cbranch_vccnz .LBB14_39
.LBB14_32:                              ;   in Loop: Header=BB14_29 Depth=2
	s_add_co_i32 s22, s22, 1
	s_add_co_i32 s29, s29, s27
	s_cmp_ge_i32 s22, s24
	s_wait_xcnt 0x0
	s_add_nc_u64 s[0:1], s[0:1], 4
	s_cselect_b32 s19, -1, 0
	s_delay_alu instid0(SALU_CYCLE_1)
	s_and_not1_b32 vcc_lo, exec_lo, s19
	s_cbranch_vccnz .LBB14_40
	s_branch .LBB14_43
.LBB14_33:                              ;   in Loop: Header=BB14_29 Depth=2
	s_min_i32 s23, s33, s19
	s_cbranch_execnz .LBB14_31
.LBB14_34:                              ;   in Loop: Header=BB14_29 Depth=2
	ds_store_b32 v9, v10 offset:2048
	s_and_saveexec_b32 s23, s25
	s_cbranch_execz .LBB14_38
; %bb.35:                               ;   in Loop: Header=BB14_29 Depth=2
	s_and_b32 vcc_lo, exec_lo, s26
	s_cbranch_vccz .LBB14_41
; %bb.36:                               ;   in Loop: Header=BB14_29 Depth=2
	v_add_nc_u32_e32 v15, s29, v14
	ds_load_b64 v[18:19], v12
	global_load_b64 v[16:17], v15, s[14:15] scale_offset
	s_wait_loadcnt_dscnt 0x0
	v_fmac_f64_e32 v[18:19], v[4:5], v[16:17]
	ds_store_b64 v12, v[18:19]
	s_cbranch_execnz .LBB14_38
.LBB14_37:                              ;   in Loop: Header=BB14_29 Depth=2
	s_wait_xcnt 0x0
	v_add_nc_u32_e32 v15, s29, v13
	ds_load_b64 v[18:19], v8
	global_load_b64 v[16:17], v15, s[14:15] scale_offset
	s_wait_loadcnt_dscnt 0x0
	v_fmac_f64_e32 v[18:19], v[4:5], v[16:17]
	ds_store_b64 v8, v[18:19]
.LBB14_38:                              ;   in Loop: Header=BB14_29 Depth=2
	s_wait_xcnt 0x0
	s_or_b32 exec_lo, exec_lo, s23
	s_mov_b32 s23, s19
	s_and_not1_b32 vcc_lo, exec_lo, s30
	s_mov_b32 s19, -1
	s_cbranch_vccz .LBB14_32
.LBB14_39:                              ;   in Loop: Header=BB14_29 Depth=2
                                        ; implicit-def: $sgpr29
                                        ; implicit-def: $sgpr0_sgpr1
	s_and_not1_b32 vcc_lo, exec_lo, s19
	s_cbranch_vccz .LBB14_43
.LBB14_40:                              ;   in Loop: Header=BB14_29 Depth=2
	s_mov_b32 s19, s23
	s_branch .LBB14_29
.LBB14_41:                              ;   in Loop: Header=BB14_29 Depth=2
	s_branch .LBB14_37
.LBB14_42:                              ;   in Loop: Header=BB14_11 Depth=1
	s_mov_b32 s23, s19
.LBB14_43:                              ;   in Loop: Header=BB14_11 Depth=1
	s_wait_dscnt 0x0
	s_barrier_signal -1
	s_barrier_wait -1
	ds_load_b32 v13, v9 offset:2048
	s_wait_dscnt 0x0
	v_cmp_eq_u32_e32 vcc_lo, 0, v13
	s_cbranch_vccnz .LBB14_10
; %bb.44:                               ;   in Loop: Header=BB14_11 Depth=1
	s_wait_xcnt 0x0
	s_add_co_i32 s0, s28, s6
	s_delay_alu instid0(SALU_CYCLE_1)
	v_mov_b32_e32 v13, s0
	global_store_b32 v11, v13, s[8:9] scale_offset
	s_wait_xcnt 0x0
	s_and_saveexec_b32 s0, s25
	s_cbranch_execz .LBB14_9
; %bb.45:                               ;   in Loop: Header=BB14_11 Depth=1
	v_mul_lo_u32 v13, v11, s3
	s_and_b32 vcc_lo, exec_lo, s26
	s_cbranch_vccz .LBB14_47
; %bb.46:                               ;   in Loop: Header=BB14_11 Depth=1
	ds_load_b64 v[14:15], v12
	v_add_nc_u32_e32 v16, v13, v6
	s_delay_alu instid0(VALU_DEP_1)
	v_mad_u32 v16, v16, s3, v7
	s_wait_dscnt 0x0
	global_store_b64 v16, v[14:15], s[10:11] scale_offset
	s_cbranch_execnz .LBB14_9
	s_branch .LBB14_48
.LBB14_47:                              ;   in Loop: Header=BB14_11 Depth=1
.LBB14_48:                              ;   in Loop: Header=BB14_11 Depth=1
	s_wait_xcnt 0x0
	ds_load_b64 v[14:15], v8
	v_add_nc_u32_e32 v13, v13, v7
	s_delay_alu instid0(VALU_DEP_1)
	v_mad_u32 v13, v13, s3, v6
	s_wait_dscnt 0x0
	global_store_b64 v13, v[14:15], s[10:11] scale_offset
	s_branch .LBB14_9
.LBB14_49:
	s_endpgm
	.section	.rodata,"a",@progbits
	.p2align	6, 0x0
	.amdhsa_kernel _ZN9rocsparseL39bsrgeam_block_per_row_multipass_kernel2ILj256ELj16EdEEv20rocsparse_direction_iiiNS_24const_host_device_scalarIT1_EEPKiS6_PKS3_S4_S6_S6_S8_S6_PiPS3_21rocsparse_index_base_SB_SB_b
		.amdhsa_group_segment_fixed_size 2056
		.amdhsa_private_segment_fixed_size 0
		.amdhsa_kernarg_size 120
		.amdhsa_user_sgpr_count 2
		.amdhsa_user_sgpr_dispatch_ptr 0
		.amdhsa_user_sgpr_queue_ptr 0
		.amdhsa_user_sgpr_kernarg_segment_ptr 1
		.amdhsa_user_sgpr_dispatch_id 0
		.amdhsa_user_sgpr_kernarg_preload_length 0
		.amdhsa_user_sgpr_kernarg_preload_offset 0
		.amdhsa_user_sgpr_private_segment_size 0
		.amdhsa_wavefront_size32 1
		.amdhsa_uses_dynamic_stack 0
		.amdhsa_enable_private_segment 0
		.amdhsa_system_sgpr_workgroup_id_x 1
		.amdhsa_system_sgpr_workgroup_id_y 0
		.amdhsa_system_sgpr_workgroup_id_z 0
		.amdhsa_system_sgpr_workgroup_info 0
		.amdhsa_system_vgpr_workitem_id 0
		.amdhsa_next_free_vgpr 20
		.amdhsa_next_free_sgpr 34
		.amdhsa_named_barrier_count 0
		.amdhsa_reserve_vcc 1
		.amdhsa_float_round_mode_32 0
		.amdhsa_float_round_mode_16_64 0
		.amdhsa_float_denorm_mode_32 3
		.amdhsa_float_denorm_mode_16_64 3
		.amdhsa_fp16_overflow 0
		.amdhsa_memory_ordered 1
		.amdhsa_forward_progress 1
		.amdhsa_inst_pref_size 12
		.amdhsa_round_robin_scheduling 0
		.amdhsa_exception_fp_ieee_invalid_op 0
		.amdhsa_exception_fp_denorm_src 0
		.amdhsa_exception_fp_ieee_div_zero 0
		.amdhsa_exception_fp_ieee_overflow 0
		.amdhsa_exception_fp_ieee_underflow 0
		.amdhsa_exception_fp_ieee_inexact 0
		.amdhsa_exception_int_div_zero 0
	.end_amdhsa_kernel
	.section	.text._ZN9rocsparseL39bsrgeam_block_per_row_multipass_kernel2ILj256ELj16EdEEv20rocsparse_direction_iiiNS_24const_host_device_scalarIT1_EEPKiS6_PKS3_S4_S6_S6_S8_S6_PiPS3_21rocsparse_index_base_SB_SB_b,"axG",@progbits,_ZN9rocsparseL39bsrgeam_block_per_row_multipass_kernel2ILj256ELj16EdEEv20rocsparse_direction_iiiNS_24const_host_device_scalarIT1_EEPKiS6_PKS3_S4_S6_S6_S8_S6_PiPS3_21rocsparse_index_base_SB_SB_b,comdat
.Lfunc_end14:
	.size	_ZN9rocsparseL39bsrgeam_block_per_row_multipass_kernel2ILj256ELj16EdEEv20rocsparse_direction_iiiNS_24const_host_device_scalarIT1_EEPKiS6_PKS3_S4_S6_S6_S8_S6_PiPS3_21rocsparse_index_base_SB_SB_b, .Lfunc_end14-_ZN9rocsparseL39bsrgeam_block_per_row_multipass_kernel2ILj256ELj16EdEEv20rocsparse_direction_iiiNS_24const_host_device_scalarIT1_EEPKiS6_PKS3_S4_S6_S6_S8_S6_PiPS3_21rocsparse_index_base_SB_SB_b
                                        ; -- End function
	.set _ZN9rocsparseL39bsrgeam_block_per_row_multipass_kernel2ILj256ELj16EdEEv20rocsparse_direction_iiiNS_24const_host_device_scalarIT1_EEPKiS6_PKS3_S4_S6_S6_S8_S6_PiPS3_21rocsparse_index_base_SB_SB_b.num_vgpr, 20
	.set _ZN9rocsparseL39bsrgeam_block_per_row_multipass_kernel2ILj256ELj16EdEEv20rocsparse_direction_iiiNS_24const_host_device_scalarIT1_EEPKiS6_PKS3_S4_S6_S6_S8_S6_PiPS3_21rocsparse_index_base_SB_SB_b.num_agpr, 0
	.set _ZN9rocsparseL39bsrgeam_block_per_row_multipass_kernel2ILj256ELj16EdEEv20rocsparse_direction_iiiNS_24const_host_device_scalarIT1_EEPKiS6_PKS3_S4_S6_S6_S8_S6_PiPS3_21rocsparse_index_base_SB_SB_b.numbered_sgpr, 34
	.set _ZN9rocsparseL39bsrgeam_block_per_row_multipass_kernel2ILj256ELj16EdEEv20rocsparse_direction_iiiNS_24const_host_device_scalarIT1_EEPKiS6_PKS3_S4_S6_S6_S8_S6_PiPS3_21rocsparse_index_base_SB_SB_b.num_named_barrier, 0
	.set _ZN9rocsparseL39bsrgeam_block_per_row_multipass_kernel2ILj256ELj16EdEEv20rocsparse_direction_iiiNS_24const_host_device_scalarIT1_EEPKiS6_PKS3_S4_S6_S6_S8_S6_PiPS3_21rocsparse_index_base_SB_SB_b.private_seg_size, 0
	.set _ZN9rocsparseL39bsrgeam_block_per_row_multipass_kernel2ILj256ELj16EdEEv20rocsparse_direction_iiiNS_24const_host_device_scalarIT1_EEPKiS6_PKS3_S4_S6_S6_S8_S6_PiPS3_21rocsparse_index_base_SB_SB_b.uses_vcc, 1
	.set _ZN9rocsparseL39bsrgeam_block_per_row_multipass_kernel2ILj256ELj16EdEEv20rocsparse_direction_iiiNS_24const_host_device_scalarIT1_EEPKiS6_PKS3_S4_S6_S6_S8_S6_PiPS3_21rocsparse_index_base_SB_SB_b.uses_flat_scratch, 0
	.set _ZN9rocsparseL39bsrgeam_block_per_row_multipass_kernel2ILj256ELj16EdEEv20rocsparse_direction_iiiNS_24const_host_device_scalarIT1_EEPKiS6_PKS3_S4_S6_S6_S8_S6_PiPS3_21rocsparse_index_base_SB_SB_b.has_dyn_sized_stack, 0
	.set _ZN9rocsparseL39bsrgeam_block_per_row_multipass_kernel2ILj256ELj16EdEEv20rocsparse_direction_iiiNS_24const_host_device_scalarIT1_EEPKiS6_PKS3_S4_S6_S6_S8_S6_PiPS3_21rocsparse_index_base_SB_SB_b.has_recursion, 0
	.set _ZN9rocsparseL39bsrgeam_block_per_row_multipass_kernel2ILj256ELj16EdEEv20rocsparse_direction_iiiNS_24const_host_device_scalarIT1_EEPKiS6_PKS3_S4_S6_S6_S8_S6_PiPS3_21rocsparse_index_base_SB_SB_b.has_indirect_call, 0
	.section	.AMDGPU.csdata,"",@progbits
; Kernel info:
; codeLenInByte = 1432
; TotalNumSgprs: 36
; NumVgprs: 20
; ScratchSize: 0
; MemoryBound: 0
; FloatMode: 240
; IeeeMode: 1
; LDSByteSize: 2056 bytes/workgroup (compile time only)
; SGPRBlocks: 0
; VGPRBlocks: 1
; NumSGPRsForWavesPerEU: 36
; NumVGPRsForWavesPerEU: 20
; NamedBarCnt: 0
; Occupancy: 16
; WaveLimiterHint : 1
; COMPUTE_PGM_RSRC2:SCRATCH_EN: 0
; COMPUTE_PGM_RSRC2:USER_SGPR: 2
; COMPUTE_PGM_RSRC2:TRAP_HANDLER: 0
; COMPUTE_PGM_RSRC2:TGID_X_EN: 1
; COMPUTE_PGM_RSRC2:TGID_Y_EN: 0
; COMPUTE_PGM_RSRC2:TGID_Z_EN: 0
; COMPUTE_PGM_RSRC2:TIDIG_COMP_CNT: 0
	.section	.text._ZN9rocsparseL39bsrgeam_block_per_row_multipass_kernel2ILj256ELj32EdEEv20rocsparse_direction_iiiNS_24const_host_device_scalarIT1_EEPKiS6_PKS3_S4_S6_S6_S8_S6_PiPS3_21rocsparse_index_base_SB_SB_b,"axG",@progbits,_ZN9rocsparseL39bsrgeam_block_per_row_multipass_kernel2ILj256ELj32EdEEv20rocsparse_direction_iiiNS_24const_host_device_scalarIT1_EEPKiS6_PKS3_S4_S6_S6_S8_S6_PiPS3_21rocsparse_index_base_SB_SB_b,comdat
	.globl	_ZN9rocsparseL39bsrgeam_block_per_row_multipass_kernel2ILj256ELj32EdEEv20rocsparse_direction_iiiNS_24const_host_device_scalarIT1_EEPKiS6_PKS3_S4_S6_S6_S8_S6_PiPS3_21rocsparse_index_base_SB_SB_b ; -- Begin function _ZN9rocsparseL39bsrgeam_block_per_row_multipass_kernel2ILj256ELj32EdEEv20rocsparse_direction_iiiNS_24const_host_device_scalarIT1_EEPKiS6_PKS3_S4_S6_S6_S8_S6_PiPS3_21rocsparse_index_base_SB_SB_b
	.p2align	8
	.type	_ZN9rocsparseL39bsrgeam_block_per_row_multipass_kernel2ILj256ELj32EdEEv20rocsparse_direction_iiiNS_24const_host_device_scalarIT1_EEPKiS6_PKS3_S4_S6_S6_S8_S6_PiPS3_21rocsparse_index_base_SB_SB_b,@function
_ZN9rocsparseL39bsrgeam_block_per_row_multipass_kernel2ILj256ELj32EdEEv20rocsparse_direction_iiiNS_24const_host_device_scalarIT1_EEPKiS6_PKS3_S4_S6_S6_S8_S6_PiPS3_21rocsparse_index_base_SB_SB_b: ; @_ZN9rocsparseL39bsrgeam_block_per_row_multipass_kernel2ILj256ELj32EdEEv20rocsparse_direction_iiiNS_24const_host_device_scalarIT1_EEPKiS6_PKS3_S4_S6_S6_S8_S6_PiPS3_21rocsparse_index_base_SB_SB_b
; %bb.0:
	s_clause 0x2
	s_load_b128 s[4:7], s[0:1], 0x68
	s_load_b64 s[2:3], s[0:1], 0x10
	s_load_b64 s[12:13], s[0:1], 0x30
	s_wait_kmcnt 0x0
	s_bitcmp1_b32 s7, 0
	v_mov_b64_e32 v[2:3], s[2:3]
	s_cselect_b32 s7, -1, 0
	s_delay_alu instid0(SALU_CYCLE_1)
	s_and_b32 vcc_lo, exec_lo, s7
	s_xor_b32 s7, s7, -1
	s_cbranch_vccnz .LBB15_2
; %bb.1:
	v_mov_b32_e32 v1, 0
	flat_load_b64 v[2:3], v1, s[2:3]
.LBB15_2:
	s_clause 0x2
	s_load_b64 s[8:9], s[0:1], 0x50
	s_load_b64 s[10:11], s[0:1], 0x18
	;; [unrolled: 1-line block ×3, first 2 shown]
	v_mov_b64_e32 v[4:5], s[12:13]
	s_and_not1_b32 vcc_lo, exec_lo, s7
	s_cbranch_vccnz .LBB15_4
; %bb.3:
	v_mov_b32_e32 v1, 0
	flat_load_b64 v[4:5], v1, s[12:13]
.LBB15_4:
	s_bfe_u32 s7, ttmp6, 0x4000c
	s_wait_xcnt 0x0
	s_and_b32 s12, ttmp6, 15
	s_add_co_i32 s7, s7, 1
	s_getreg_b32 s13, hwreg(HW_REG_IB_STS2, 6, 4)
	s_mul_i32 s7, ttmp9, s7
	s_delay_alu instid0(SALU_CYCLE_1) | instskip(SKIP_2) | instid1(SALU_CYCLE_1)
	s_add_co_i32 s12, s12, s7
	s_cmp_eq_u32 s13, 0
	s_cselect_b32 s12, ttmp9, s12
	s_ashr_i32 s13, s12, 31
	s_delay_alu instid0(SALU_CYCLE_1)
	s_lshl_b64 s[12:13], s[12:13], 2
	s_wait_kmcnt 0x0
	s_add_nc_u64 s[10:11], s[10:11], s[12:13]
	s_add_nc_u64 s[22:23], s[8:9], s[12:13]
	s_load_b64 s[24:25], s[10:11], 0x0
	s_wait_xcnt 0x0
	s_add_nc_u64 s[10:11], s[2:3], s[12:13]
	s_clause 0x1
	s_load_b64 s[2:3], s[0:1], 0x8
	s_load_b64 s[16:17], s[0:1], 0x20
	;; [unrolled: 1-line block ×3, first 2 shown]
	s_wait_kmcnt 0x0
	s_mov_b32 s19, s2
	s_sub_co_i32 s18, s24, s4
	s_cmp_ge_i32 s24, s25
	s_cbranch_scc1 .LBB15_6
; %bb.5:
	s_ashr_i32 s19, s18, 31
	s_delay_alu instid0(SALU_CYCLE_1) | instskip(NEXT) | instid1(SALU_CYCLE_1)
	s_lshl_b64 s[8:9], s[18:19], 2
	s_add_nc_u64 s[8:9], s[16:17], s[8:9]
	s_load_b32 s7, s[8:9], 0x0
	s_wait_kmcnt 0x0
	s_sub_co_i32 s19, s7, s4
.LBB15_6:
	s_clause 0x2
	s_load_b128 s[8:11], s[0:1], 0x58
	s_load_b64 s[20:21], s[0:1], 0x28
	s_load_b128 s[12:15], s[0:1], 0x40
	s_load_b32 s28, s[22:23], 0x0
	s_wait_xcnt 0x0
	s_sub_co_i32 s22, s26, s5
	s_cmp_ge_i32 s26, s27
	s_mov_b32 s23, s2
	s_cbranch_scc1 .LBB15_8
; %bb.7:
	s_ashr_i32 s23, s22, 31
	s_delay_alu instid0(SALU_CYCLE_1)
	s_lshl_b64 s[30:31], s[22:23], 2
	s_wait_kmcnt 0x0
	s_add_nc_u64 s[30:31], s[12:13], s[30:31]
	s_load_b32 s7, s[30:31], 0x0
	s_wait_kmcnt 0x0
	s_sub_co_i32 s23, s7, s5
.LBB15_8:
	s_load_b32 s26, s[0:1], 0x0
	v_dual_lshrrev_b32 v6, 3, v0 :: v_dual_bitop2_b32 v7, 7, v0 bitop3:0x40
	s_wait_kmcnt 0x0
	s_sub_co_i32 s28, s28, s6
	s_sub_co_i32 s7, s25, s4
	;; [unrolled: 1-line block ×3, first 2 shown]
	v_dual_lshlrev_b32 v0, 8, v6 :: v_dual_bitop2_b32 v8, 8, v7 bitop3:0x54
	v_cmp_gt_i32_e32 vcc_lo, s3, v6
	v_cmp_gt_u32_e64 s0, s3, v7
	v_dual_mov_b32 v19, s28 :: v_dual_bitop2_b32 v10, 16, v7 bitop3:0x54
	s_delay_alu instid0(VALU_DEP_4)
	v_lshl_or_b32 v9, v7, 3, v0
	v_dual_mov_b32 v20, 0 :: v_dual_bitop2_b32 v11, 24, v7 bitop3:0x54
	v_mad_i32_i24 v0, 0xffffff08, v6, v0
	v_cmp_gt_u32_e64 s1, s3, v8
	s_min_i32 s31, s23, s19
	v_dual_mov_b32 v21, 1 :: v_dual_bitop2_b32 v12, 64, v9 bitop3:0x54
	s_cmp_lg_u32 s26, 0
	v_lshl_add_u32 v15, v7, 8, v0
	s_cselect_b32 s25, -1, 0
	s_and_b32 s26, vcc_lo, s0
	s_and_b32 s27, vcc_lo, s1
	v_lshl_add_u32 v16, v8, 8, v0
	v_cmp_gt_u32_e64 s0, s3, v10
	v_lshl_add_u32 v17, v10, 8, v0
	v_cmp_gt_u32_e64 s1, s3, v11
	v_lshl_add_u32 v18, v11, 8, v0
	v_mov_b64_e32 v[0:1], 0
	v_or_b32_e32 v13, 0x80, v9
	v_or_b32_e32 v14, 0xc0, v9
	s_and_b32 s28, vcc_lo, s0
	s_and_b32 s29, vcc_lo, s1
	s_mul_i32 s30, s3, s3
	s_branch .LBB15_12
.LBB15_9:                               ;   in Loop: Header=BB15_12 Depth=1
	ds_load_b64 v[24:25], v24
	s_wait_dscnt 0x0
	global_store_b64 v23, v[24:25], s[10:11] scale_offset
.LBB15_10:                              ;   in Loop: Header=BB15_12 Depth=1
	s_wait_xcnt 0x0
	s_or_b32 exec_lo, exec_lo, s0
.LBB15_11:                              ;   in Loop: Header=BB15_12 Depth=1
	s_wait_storecnt 0x0
	s_barrier_signal -1
	s_barrier_wait -1
	ds_load_b32 v22, v20 offset:8192
	s_cmp_lt_i32 s23, s2
	s_mov_b32 s31, s23
	s_wait_dscnt 0x0
	s_barrier_signal -1
	s_barrier_wait -1
	v_add_nc_u32_e32 v19, v22, v19
	s_cbranch_scc0 .LBB15_98
.LBB15_12:                              ; =>This Loop Header: Depth=1
                                        ;     Child Loop BB15_14 Depth 2
                                        ;     Child Loop BB15_45 Depth 2
	s_cmp_ge_i32 s18, s7
	ds_store_b32 v20, v20 offset:8192
	ds_store_2addr_b64 v9, v[0:1], v[0:1] offset1:8
	ds_store_2addr_b64 v9, v[0:1], v[0:1] offset0:16 offset1:24
	s_wait_loadcnt_dscnt 0x0
	s_barrier_signal -1
	s_barrier_wait -1
	s_cbranch_scc1 .LBB15_42
; %bb.13:                               ;   in Loop: Header=BB15_12 Depth=1
	s_wait_xcnt 0x0
	s_mul_i32 s0, s3, s18
	s_ashr_i32 s19, s18, 31
	v_dual_add_nc_u32 v22, s0, v7 :: v_dual_add_nc_u32 v23, s0, v8
	v_dual_add_nc_u32 v24, s0, v10 :: v_dual_add_nc_u32 v25, s0, v11
	v_add_nc_u32_e32 v26, s0, v6
	s_delay_alu instid0(VALU_DEP_3) | instskip(NEXT) | instid1(VALU_DEP_4)
	v_mad_u32 v22, s3, v22, v6
	v_mad_u32 v23, s3, v23, v6
	s_delay_alu instid0(VALU_DEP_4)
	v_mad_u32 v24, s3, v24, v6
	v_mad_u32 v25, s3, v25, v6
	;; [unrolled: 1-line block ×3, first 2 shown]
	s_lshl_b64 s[0:1], s[18:19], 2
	s_mov_b32 s23, 0
	s_add_nc_u64 s[0:1], s[16:17], s[0:1]
	s_mov_b32 s33, s2
.LBB15_14:                              ;   Parent Loop BB15_12 Depth=1
                                        ; =>  This Inner Loop Header: Depth=2
	s_load_b32 s19, s[0:1], 0x0
	s_mov_b32 s35, -1
	s_wait_kmcnt 0x0
	s_sub_co_i32 s36, s19, s4
                                        ; implicit-def: $sgpr19
	s_delay_alu instid0(SALU_CYCLE_1)
	s_cmp_eq_u32 s36, s31
	s_cselect_b32 s34, -1, 0
	s_cmp_lg_u32 s36, s31
	s_cbranch_scc1 .LBB15_18
; %bb.15:                               ;   in Loop: Header=BB15_14 Depth=2
	s_and_not1_b32 vcc_lo, exec_lo, s35
	s_cbranch_vccz .LBB15_19
.LBB15_16:                              ;   in Loop: Header=BB15_14 Depth=2
	s_and_not1_b32 vcc_lo, exec_lo, s34
	s_mov_b32 s33, -1
	s_cbranch_vccnz .LBB15_36
.LBB15_17:                              ;   in Loop: Header=BB15_14 Depth=2
	s_add_co_i32 s18, s18, 1
	s_add_co_i32 s23, s23, s30
	s_cmp_ge_i32 s18, s7
	s_wait_xcnt 0x0
	s_add_nc_u64 s[0:1], s[0:1], 4
	s_cselect_b32 s33, -1, 0
	s_delay_alu instid0(SALU_CYCLE_1)
	s_and_not1_b32 vcc_lo, exec_lo, s33
	s_cbranch_vccnz .LBB15_37
	s_branch .LBB15_43
.LBB15_18:                              ;   in Loop: Header=BB15_14 Depth=2
	s_min_i32 s19, s36, s33
	s_cbranch_execnz .LBB15_16
.LBB15_19:                              ;   in Loop: Header=BB15_14 Depth=2
	ds_store_b32 v20, v21 offset:8192
	s_and_saveexec_b32 s19, s26
	s_cbranch_execz .LBB15_23
; %bb.20:                               ;   in Loop: Header=BB15_14 Depth=2
	s_and_b32 vcc_lo, exec_lo, s25
	s_cbranch_vccz .LBB15_38
; %bb.21:                               ;   in Loop: Header=BB15_14 Depth=2
	v_add_nc_u32_e32 v27, s23, v22
	global_load_b64 v[28:29], v27, s[20:21] scale_offset
	s_wait_loadcnt 0x0
	v_mul_f64_e32 v[28:29], v[2:3], v[28:29]
	ds_store_b64 v15, v[28:29]
	s_cbranch_execnz .LBB15_23
.LBB15_22:                              ;   in Loop: Header=BB15_14 Depth=2
	s_wait_xcnt 0x0
	v_add_nc_u32_e32 v27, s23, v26
	global_load_b64 v[28:29], v27, s[20:21] scale_offset
	s_wait_loadcnt 0x0
	v_mul_f64_e32 v[28:29], v[2:3], v[28:29]
	ds_store_b64 v9, v[28:29]
.LBB15_23:                              ;   in Loop: Header=BB15_14 Depth=2
	s_wait_xcnt 0x0
	s_or_b32 exec_lo, exec_lo, s19
	s_and_saveexec_b32 s19, s27
	s_cbranch_execz .LBB15_27
; %bb.24:                               ;   in Loop: Header=BB15_14 Depth=2
	s_and_not1_b32 vcc_lo, exec_lo, s25
	s_cbranch_vccnz .LBB15_39
; %bb.25:                               ;   in Loop: Header=BB15_14 Depth=2
	v_add_nc_u32_e32 v27, s23, v23
	global_load_b64 v[28:29], v27, s[20:21] scale_offset
	s_wait_loadcnt 0x0
	v_mul_f64_e32 v[28:29], v[2:3], v[28:29]
	ds_store_b64 v16, v[28:29]
	s_cbranch_execnz .LBB15_27
.LBB15_26:                              ;   in Loop: Header=BB15_14 Depth=2
	v_add3_u32 v27, v26, s23, 8
	global_load_b64 v[28:29], v27, s[20:21] scale_offset
	s_wait_loadcnt 0x0
	v_mul_f64_e32 v[28:29], v[2:3], v[28:29]
	ds_store_b64 v12, v[28:29]
.LBB15_27:                              ;   in Loop: Header=BB15_14 Depth=2
	s_or_b32 exec_lo, exec_lo, s19
	s_and_saveexec_b32 s19, s28
	s_cbranch_execz .LBB15_31
; %bb.28:                               ;   in Loop: Header=BB15_14 Depth=2
	s_and_not1_b32 vcc_lo, exec_lo, s25
	s_cbranch_vccnz .LBB15_40
; %bb.29:                               ;   in Loop: Header=BB15_14 Depth=2
	v_add_nc_u32_e32 v27, s23, v24
	global_load_b64 v[28:29], v27, s[20:21] scale_offset
	s_wait_loadcnt 0x0
	v_mul_f64_e32 v[28:29], v[2:3], v[28:29]
	ds_store_b64 v17, v[28:29]
	s_cbranch_execnz .LBB15_31
.LBB15_30:                              ;   in Loop: Header=BB15_14 Depth=2
	v_add3_u32 v27, v26, s23, 16
	global_load_b64 v[28:29], v27, s[20:21] scale_offset
	s_wait_loadcnt 0x0
	v_mul_f64_e32 v[28:29], v[2:3], v[28:29]
	ds_store_b64 v13, v[28:29]
.LBB15_31:                              ;   in Loop: Header=BB15_14 Depth=2
	s_or_b32 exec_lo, exec_lo, s19
	s_and_saveexec_b32 s19, s29
	s_cbranch_execz .LBB15_35
; %bb.32:                               ;   in Loop: Header=BB15_14 Depth=2
	s_and_not1_b32 vcc_lo, exec_lo, s25
	s_cbranch_vccnz .LBB15_41
; %bb.33:                               ;   in Loop: Header=BB15_14 Depth=2
	v_add_nc_u32_e32 v27, s23, v25
	global_load_b64 v[28:29], v27, s[20:21] scale_offset
	s_wait_loadcnt 0x0
	v_mul_f64_e32 v[28:29], v[2:3], v[28:29]
	ds_store_b64 v18, v[28:29]
	s_cbranch_execnz .LBB15_35
.LBB15_34:                              ;   in Loop: Header=BB15_14 Depth=2
	v_add3_u32 v27, v26, s23, 24
	global_load_b64 v[28:29], v27, s[20:21] scale_offset
	s_wait_loadcnt 0x0
	v_mul_f64_e32 v[28:29], v[2:3], v[28:29]
	ds_store_b64 v14, v[28:29]
.LBB15_35:                              ;   in Loop: Header=BB15_14 Depth=2
	s_or_b32 exec_lo, exec_lo, s19
	s_mov_b32 s19, s33
	s_and_not1_b32 vcc_lo, exec_lo, s34
	s_mov_b32 s33, -1
	s_cbranch_vccz .LBB15_17
.LBB15_36:                              ;   in Loop: Header=BB15_14 Depth=2
                                        ; implicit-def: $sgpr23
                                        ; implicit-def: $sgpr0_sgpr1
	s_and_not1_b32 vcc_lo, exec_lo, s33
	s_cbranch_vccz .LBB15_43
.LBB15_37:                              ;   in Loop: Header=BB15_14 Depth=2
	s_mov_b32 s33, s19
	s_branch .LBB15_14
.LBB15_38:                              ;   in Loop: Header=BB15_14 Depth=2
	s_branch .LBB15_22
.LBB15_39:                              ;   in Loop: Header=BB15_14 Depth=2
	s_branch .LBB15_26
.LBB15_40:                              ;   in Loop: Header=BB15_14 Depth=2
	s_branch .LBB15_30
.LBB15_41:                              ;   in Loop: Header=BB15_14 Depth=2
	s_branch .LBB15_34
.LBB15_42:                              ;   in Loop: Header=BB15_12 Depth=1
	s_mov_b32 s19, s2
.LBB15_43:                              ;   in Loop: Header=BB15_12 Depth=1
	s_cmp_ge_i32 s22, s24
	s_wait_dscnt 0x0
	s_barrier_signal -1
	s_barrier_wait -1
	s_cbranch_scc1 .LBB15_73
; %bb.44:                               ;   in Loop: Header=BB15_12 Depth=1
	s_wait_xcnt 0x0
	s_mul_i32 s0, s3, s22
	s_ashr_i32 s23, s22, 31
	v_dual_add_nc_u32 v22, s0, v7 :: v_dual_add_nc_u32 v23, s0, v8
	v_dual_add_nc_u32 v24, s0, v10 :: v_dual_add_nc_u32 v25, s0, v11
	v_add_nc_u32_e32 v26, s0, v6
	s_delay_alu instid0(VALU_DEP_3) | instskip(NEXT) | instid1(VALU_DEP_4)
	v_mad_u32 v22, s3, v22, v6
	v_mad_u32 v23, s3, v23, v6
	s_delay_alu instid0(VALU_DEP_4)
	v_mad_u32 v24, s3, v24, v6
	v_mad_u32 v25, s3, v25, v6
	;; [unrolled: 1-line block ×3, first 2 shown]
	s_lshl_b64 s[0:1], s[22:23], 2
	s_mov_b32 s33, 0
	s_add_nc_u64 s[0:1], s[12:13], s[0:1]
.LBB15_45:                              ;   Parent Loop BB15_12 Depth=1
                                        ; =>  This Inner Loop Header: Depth=2
	s_load_b32 s23, s[0:1], 0x0
	s_mov_b32 s35, -1
	s_wait_kmcnt 0x0
	s_sub_co_i32 s36, s23, s5
                                        ; implicit-def: $sgpr23
	s_delay_alu instid0(SALU_CYCLE_1)
	s_cmp_eq_u32 s36, s31
	s_cselect_b32 s34, -1, 0
	s_cmp_lg_u32 s36, s31
	s_cbranch_scc1 .LBB15_49
; %bb.46:                               ;   in Loop: Header=BB15_45 Depth=2
	s_and_not1_b32 vcc_lo, exec_lo, s35
	s_cbranch_vccz .LBB15_50
.LBB15_47:                              ;   in Loop: Header=BB15_45 Depth=2
	s_and_not1_b32 vcc_lo, exec_lo, s34
	s_mov_b32 s19, -1
	s_cbranch_vccnz .LBB15_67
.LBB15_48:                              ;   in Loop: Header=BB15_45 Depth=2
	s_add_co_i32 s22, s22, 1
	s_add_co_i32 s33, s33, s30
	s_cmp_ge_i32 s22, s24
	s_wait_xcnt 0x0
	s_add_nc_u64 s[0:1], s[0:1], 4
	s_cselect_b32 s19, -1, 0
	s_delay_alu instid0(SALU_CYCLE_1)
	s_and_not1_b32 vcc_lo, exec_lo, s19
	s_cbranch_vccnz .LBB15_68
	s_branch .LBB15_74
.LBB15_49:                              ;   in Loop: Header=BB15_45 Depth=2
	s_min_i32 s23, s36, s19
	s_cbranch_execnz .LBB15_47
.LBB15_50:                              ;   in Loop: Header=BB15_45 Depth=2
	ds_store_b32 v20, v21 offset:8192
	s_and_saveexec_b32 s23, s26
	s_cbranch_execz .LBB15_54
; %bb.51:                               ;   in Loop: Header=BB15_45 Depth=2
	s_and_b32 vcc_lo, exec_lo, s25
	s_cbranch_vccz .LBB15_69
; %bb.52:                               ;   in Loop: Header=BB15_45 Depth=2
	v_add_nc_u32_e32 v27, s33, v22
	ds_load_b64 v[30:31], v15
	global_load_b64 v[28:29], v27, s[14:15] scale_offset
	s_wait_loadcnt_dscnt 0x0
	v_fmac_f64_e32 v[30:31], v[4:5], v[28:29]
	ds_store_b64 v15, v[30:31]
	s_cbranch_execnz .LBB15_54
.LBB15_53:                              ;   in Loop: Header=BB15_45 Depth=2
	s_wait_xcnt 0x0
	v_add_nc_u32_e32 v27, s33, v26
	ds_load_b64 v[30:31], v9
	global_load_b64 v[28:29], v27, s[14:15] scale_offset
	s_wait_loadcnt_dscnt 0x0
	v_fmac_f64_e32 v[30:31], v[4:5], v[28:29]
	ds_store_b64 v9, v[30:31]
.LBB15_54:                              ;   in Loop: Header=BB15_45 Depth=2
	s_wait_xcnt 0x0
	s_or_b32 exec_lo, exec_lo, s23
	s_and_saveexec_b32 s23, s27
	s_cbranch_execz .LBB15_58
; %bb.55:                               ;   in Loop: Header=BB15_45 Depth=2
	s_and_not1_b32 vcc_lo, exec_lo, s25
	s_cbranch_vccnz .LBB15_70
; %bb.56:                               ;   in Loop: Header=BB15_45 Depth=2
	v_add_nc_u32_e32 v27, s33, v23
	ds_load_b64 v[30:31], v16
	global_load_b64 v[28:29], v27, s[14:15] scale_offset
	s_wait_loadcnt_dscnt 0x0
	v_fmac_f64_e32 v[30:31], v[4:5], v[28:29]
	ds_store_b64 v16, v[30:31]
	s_cbranch_execnz .LBB15_58
.LBB15_57:                              ;   in Loop: Header=BB15_45 Depth=2
	v_add3_u32 v27, v26, s33, 8
	ds_load_b64 v[30:31], v12
	global_load_b64 v[28:29], v27, s[14:15] scale_offset
	s_wait_loadcnt_dscnt 0x0
	v_fmac_f64_e32 v[30:31], v[4:5], v[28:29]
	ds_store_b64 v12, v[30:31]
.LBB15_58:                              ;   in Loop: Header=BB15_45 Depth=2
	s_or_b32 exec_lo, exec_lo, s23
	s_and_saveexec_b32 s23, s28
	s_cbranch_execz .LBB15_62
; %bb.59:                               ;   in Loop: Header=BB15_45 Depth=2
	s_and_not1_b32 vcc_lo, exec_lo, s25
	s_cbranch_vccnz .LBB15_71
; %bb.60:                               ;   in Loop: Header=BB15_45 Depth=2
	v_add_nc_u32_e32 v27, s33, v24
	ds_load_b64 v[30:31], v17
	global_load_b64 v[28:29], v27, s[14:15] scale_offset
	s_wait_loadcnt_dscnt 0x0
	v_fmac_f64_e32 v[30:31], v[4:5], v[28:29]
	ds_store_b64 v17, v[30:31]
	s_cbranch_execnz .LBB15_62
.LBB15_61:                              ;   in Loop: Header=BB15_45 Depth=2
	v_add3_u32 v27, v26, s33, 16
	ds_load_b64 v[30:31], v13
	global_load_b64 v[28:29], v27, s[14:15] scale_offset
	s_wait_loadcnt_dscnt 0x0
	v_fmac_f64_e32 v[30:31], v[4:5], v[28:29]
	ds_store_b64 v13, v[30:31]
.LBB15_62:                              ;   in Loop: Header=BB15_45 Depth=2
	s_or_b32 exec_lo, exec_lo, s23
	s_and_saveexec_b32 s23, s29
	s_cbranch_execz .LBB15_66
; %bb.63:                               ;   in Loop: Header=BB15_45 Depth=2
	s_and_not1_b32 vcc_lo, exec_lo, s25
	s_cbranch_vccnz .LBB15_72
; %bb.64:                               ;   in Loop: Header=BB15_45 Depth=2
	v_add_nc_u32_e32 v27, s33, v25
	ds_load_b64 v[30:31], v18
	global_load_b64 v[28:29], v27, s[14:15] scale_offset
	s_wait_loadcnt_dscnt 0x0
	v_fmac_f64_e32 v[30:31], v[4:5], v[28:29]
	ds_store_b64 v18, v[30:31]
	s_cbranch_execnz .LBB15_66
.LBB15_65:                              ;   in Loop: Header=BB15_45 Depth=2
	v_add3_u32 v27, v26, s33, 24
	ds_load_b64 v[30:31], v14
	global_load_b64 v[28:29], v27, s[14:15] scale_offset
	s_wait_loadcnt_dscnt 0x0
	v_fmac_f64_e32 v[30:31], v[4:5], v[28:29]
	ds_store_b64 v14, v[30:31]
.LBB15_66:                              ;   in Loop: Header=BB15_45 Depth=2
	s_or_b32 exec_lo, exec_lo, s23
	s_mov_b32 s23, s19
	s_and_not1_b32 vcc_lo, exec_lo, s34
	s_mov_b32 s19, -1
	s_cbranch_vccz .LBB15_48
.LBB15_67:                              ;   in Loop: Header=BB15_45 Depth=2
                                        ; implicit-def: $sgpr33
                                        ; implicit-def: $sgpr0_sgpr1
	s_and_not1_b32 vcc_lo, exec_lo, s19
	s_cbranch_vccz .LBB15_74
.LBB15_68:                              ;   in Loop: Header=BB15_45 Depth=2
	s_mov_b32 s19, s23
	s_branch .LBB15_45
.LBB15_69:                              ;   in Loop: Header=BB15_45 Depth=2
	s_branch .LBB15_53
.LBB15_70:                              ;   in Loop: Header=BB15_45 Depth=2
	s_branch .LBB15_57
.LBB15_71:                              ;   in Loop: Header=BB15_45 Depth=2
	s_branch .LBB15_61
.LBB15_72:                              ;   in Loop: Header=BB15_45 Depth=2
	s_branch .LBB15_65
.LBB15_73:                              ;   in Loop: Header=BB15_12 Depth=1
	s_mov_b32 s23, s19
.LBB15_74:                              ;   in Loop: Header=BB15_12 Depth=1
	s_wait_dscnt 0x0
	s_barrier_signal -1
	s_barrier_wait -1
	ds_load_b32 v22, v20 offset:8192
	s_wait_dscnt 0x0
	v_cmp_eq_u32_e32 vcc_lo, 0, v22
	s_cbranch_vccnz .LBB15_11
; %bb.75:                               ;   in Loop: Header=BB15_12 Depth=1
	v_mul_lo_u32 v23, v19, s3
	s_wait_xcnt 0x0
	s_add_co_i32 s0, s31, s6
	s_delay_alu instid0(SALU_CYCLE_1) | instskip(SKIP_2) | instid1(VALU_DEP_1)
	v_mov_b32_e32 v24, s0
	global_store_b32 v19, v24, s[8:9] scale_offset
	v_add_nc_u32_e32 v22, v23, v6
	v_mul_lo_u32 v22, v22, s3
	s_wait_xcnt 0x0
	s_and_saveexec_b32 s0, s26
	s_cbranch_execnz .LBB15_79
; %bb.76:                               ;   in Loop: Header=BB15_12 Depth=1
	s_or_b32 exec_lo, exec_lo, s0
	s_and_saveexec_b32 s0, s27
	s_cbranch_execnz .LBB15_83
.LBB15_77:                              ;   in Loop: Header=BB15_12 Depth=1
	s_or_b32 exec_lo, exec_lo, s0
	s_and_saveexec_b32 s0, s28
	s_cbranch_execnz .LBB15_87
.LBB15_78:                              ;   in Loop: Header=BB15_12 Depth=1
	s_or_b32 exec_lo, exec_lo, s0
	s_and_saveexec_b32 s0, s29
	s_cbranch_execz .LBB15_10
	s_branch .LBB15_91
.LBB15_79:                              ;   in Loop: Header=BB15_12 Depth=1
	s_and_b32 vcc_lo, exec_lo, s25
	s_cbranch_vccz .LBB15_93
; %bb.80:                               ;   in Loop: Header=BB15_12 Depth=1
	v_add_nc_u32_e32 v24, v23, v7
	s_delay_alu instid0(VALU_DEP_1)
	v_mad_u32 v24, v24, s3, v6
	v_mov_b32_e32 v25, v15
	s_cbranch_execnz .LBB15_82
.LBB15_81:                              ;   in Loop: Header=BB15_12 Depth=1
	s_delay_alu instid0(VALU_DEP_2)
	v_dual_mov_b32 v25, v9 :: v_dual_add_nc_u32 v24, v22, v7
.LBB15_82:                              ;   in Loop: Header=BB15_12 Depth=1
	ds_load_b64 v[26:27], v25
	s_wait_dscnt 0x0
	global_store_b64 v24, v[26:27], s[10:11] scale_offset
	s_wait_xcnt 0x0
	s_or_b32 exec_lo, exec_lo, s0
	s_and_saveexec_b32 s0, s27
	s_cbranch_execz .LBB15_77
.LBB15_83:                              ;   in Loop: Header=BB15_12 Depth=1
	s_and_not1_b32 vcc_lo, exec_lo, s25
	s_cbranch_vccnz .LBB15_94
; %bb.84:                               ;   in Loop: Header=BB15_12 Depth=1
	v_add_nc_u32_e32 v24, v23, v8
	s_delay_alu instid0(VALU_DEP_1)
	v_mad_u32 v24, v24, s3, v6
	v_mov_b32_e32 v25, v16
	s_cbranch_execnz .LBB15_86
.LBB15_85:                              ;   in Loop: Header=BB15_12 Depth=1
	v_dual_mov_b32 v25, v12 :: v_dual_add_nc_u32 v24, v22, v8
.LBB15_86:                              ;   in Loop: Header=BB15_12 Depth=1
	ds_load_b64 v[26:27], v25
	s_wait_dscnt 0x0
	global_store_b64 v24, v[26:27], s[10:11] scale_offset
	s_wait_xcnt 0x0
	s_or_b32 exec_lo, exec_lo, s0
	s_and_saveexec_b32 s0, s28
	s_cbranch_execz .LBB15_78
.LBB15_87:                              ;   in Loop: Header=BB15_12 Depth=1
	s_and_not1_b32 vcc_lo, exec_lo, s25
	s_cbranch_vccnz .LBB15_95
; %bb.88:                               ;   in Loop: Header=BB15_12 Depth=1
	v_add_nc_u32_e32 v24, v23, v10
	s_delay_alu instid0(VALU_DEP_1)
	v_mad_u32 v24, v24, s3, v6
	v_mov_b32_e32 v25, v17
	s_cbranch_execnz .LBB15_90
.LBB15_89:                              ;   in Loop: Header=BB15_12 Depth=1
	v_dual_mov_b32 v25, v13 :: v_dual_add_nc_u32 v24, v22, v10
.LBB15_90:                              ;   in Loop: Header=BB15_12 Depth=1
	ds_load_b64 v[26:27], v25
	s_wait_dscnt 0x0
	global_store_b64 v24, v[26:27], s[10:11] scale_offset
	s_wait_xcnt 0x0
	s_or_b32 exec_lo, exec_lo, s0
	s_and_saveexec_b32 s0, s29
	s_cbranch_execz .LBB15_10
.LBB15_91:                              ;   in Loop: Header=BB15_12 Depth=1
	s_and_not1_b32 vcc_lo, exec_lo, s25
	s_cbranch_vccnz .LBB15_96
; %bb.92:                               ;   in Loop: Header=BB15_12 Depth=1
	v_add_nc_u32_e32 v23, v23, v11
	s_delay_alu instid0(VALU_DEP_1)
	v_mad_u32 v23, v23, s3, v6
	v_mov_b32_e32 v24, v18
	s_cbranch_execnz .LBB15_9
	s_branch .LBB15_97
.LBB15_93:                              ;   in Loop: Header=BB15_12 Depth=1
                                        ; implicit-def: $vgpr24
	v_mov_b32_e32 v25, v15
	s_branch .LBB15_81
.LBB15_94:                              ;   in Loop: Header=BB15_12 Depth=1
                                        ; implicit-def: $vgpr24
	v_mov_b32_e32 v25, v16
	s_branch .LBB15_85
.LBB15_95:                              ;   in Loop: Header=BB15_12 Depth=1
                                        ; implicit-def: $vgpr24
	v_mov_b32_e32 v25, v17
	s_branch .LBB15_89
.LBB15_96:                              ;   in Loop: Header=BB15_12 Depth=1
                                        ; implicit-def: $vgpr23
	v_mov_b32_e32 v24, v18
.LBB15_97:                              ;   in Loop: Header=BB15_12 Depth=1
	v_add_nc_u32_e32 v23, v22, v11
	v_mov_b32_e32 v24, v14
	s_branch .LBB15_9
.LBB15_98:
	s_endpgm
	.section	.rodata,"a",@progbits
	.p2align	6, 0x0
	.amdhsa_kernel _ZN9rocsparseL39bsrgeam_block_per_row_multipass_kernel2ILj256ELj32EdEEv20rocsparse_direction_iiiNS_24const_host_device_scalarIT1_EEPKiS6_PKS3_S4_S6_S6_S8_S6_PiPS3_21rocsparse_index_base_SB_SB_b
		.amdhsa_group_segment_fixed_size 8200
		.amdhsa_private_segment_fixed_size 0
		.amdhsa_kernarg_size 120
		.amdhsa_user_sgpr_count 2
		.amdhsa_user_sgpr_dispatch_ptr 0
		.amdhsa_user_sgpr_queue_ptr 0
		.amdhsa_user_sgpr_kernarg_segment_ptr 1
		.amdhsa_user_sgpr_dispatch_id 0
		.amdhsa_user_sgpr_kernarg_preload_length 0
		.amdhsa_user_sgpr_kernarg_preload_offset 0
		.amdhsa_user_sgpr_private_segment_size 0
		.amdhsa_wavefront_size32 1
		.amdhsa_uses_dynamic_stack 0
		.amdhsa_enable_private_segment 0
		.amdhsa_system_sgpr_workgroup_id_x 1
		.amdhsa_system_sgpr_workgroup_id_y 0
		.amdhsa_system_sgpr_workgroup_id_z 0
		.amdhsa_system_sgpr_workgroup_info 0
		.amdhsa_system_vgpr_workitem_id 0
		.amdhsa_next_free_vgpr 32
		.amdhsa_next_free_sgpr 37
		.amdhsa_named_barrier_count 0
		.amdhsa_reserve_vcc 1
		.amdhsa_float_round_mode_32 0
		.amdhsa_float_round_mode_16_64 0
		.amdhsa_float_denorm_mode_32 3
		.amdhsa_float_denorm_mode_16_64 3
		.amdhsa_fp16_overflow 0
		.amdhsa_memory_ordered 1
		.amdhsa_forward_progress 1
		.amdhsa_inst_pref_size 21
		.amdhsa_round_robin_scheduling 0
		.amdhsa_exception_fp_ieee_invalid_op 0
		.amdhsa_exception_fp_denorm_src 0
		.amdhsa_exception_fp_ieee_div_zero 0
		.amdhsa_exception_fp_ieee_overflow 0
		.amdhsa_exception_fp_ieee_underflow 0
		.amdhsa_exception_fp_ieee_inexact 0
		.amdhsa_exception_int_div_zero 0
	.end_amdhsa_kernel
	.section	.text._ZN9rocsparseL39bsrgeam_block_per_row_multipass_kernel2ILj256ELj32EdEEv20rocsparse_direction_iiiNS_24const_host_device_scalarIT1_EEPKiS6_PKS3_S4_S6_S6_S8_S6_PiPS3_21rocsparse_index_base_SB_SB_b,"axG",@progbits,_ZN9rocsparseL39bsrgeam_block_per_row_multipass_kernel2ILj256ELj32EdEEv20rocsparse_direction_iiiNS_24const_host_device_scalarIT1_EEPKiS6_PKS3_S4_S6_S6_S8_S6_PiPS3_21rocsparse_index_base_SB_SB_b,comdat
.Lfunc_end15:
	.size	_ZN9rocsparseL39bsrgeam_block_per_row_multipass_kernel2ILj256ELj32EdEEv20rocsparse_direction_iiiNS_24const_host_device_scalarIT1_EEPKiS6_PKS3_S4_S6_S6_S8_S6_PiPS3_21rocsparse_index_base_SB_SB_b, .Lfunc_end15-_ZN9rocsparseL39bsrgeam_block_per_row_multipass_kernel2ILj256ELj32EdEEv20rocsparse_direction_iiiNS_24const_host_device_scalarIT1_EEPKiS6_PKS3_S4_S6_S6_S8_S6_PiPS3_21rocsparse_index_base_SB_SB_b
                                        ; -- End function
	.set _ZN9rocsparseL39bsrgeam_block_per_row_multipass_kernel2ILj256ELj32EdEEv20rocsparse_direction_iiiNS_24const_host_device_scalarIT1_EEPKiS6_PKS3_S4_S6_S6_S8_S6_PiPS3_21rocsparse_index_base_SB_SB_b.num_vgpr, 32
	.set _ZN9rocsparseL39bsrgeam_block_per_row_multipass_kernel2ILj256ELj32EdEEv20rocsparse_direction_iiiNS_24const_host_device_scalarIT1_EEPKiS6_PKS3_S4_S6_S6_S8_S6_PiPS3_21rocsparse_index_base_SB_SB_b.num_agpr, 0
	.set _ZN9rocsparseL39bsrgeam_block_per_row_multipass_kernel2ILj256ELj32EdEEv20rocsparse_direction_iiiNS_24const_host_device_scalarIT1_EEPKiS6_PKS3_S4_S6_S6_S8_S6_PiPS3_21rocsparse_index_base_SB_SB_b.numbered_sgpr, 37
	.set _ZN9rocsparseL39bsrgeam_block_per_row_multipass_kernel2ILj256ELj32EdEEv20rocsparse_direction_iiiNS_24const_host_device_scalarIT1_EEPKiS6_PKS3_S4_S6_S6_S8_S6_PiPS3_21rocsparse_index_base_SB_SB_b.num_named_barrier, 0
	.set _ZN9rocsparseL39bsrgeam_block_per_row_multipass_kernel2ILj256ELj32EdEEv20rocsparse_direction_iiiNS_24const_host_device_scalarIT1_EEPKiS6_PKS3_S4_S6_S6_S8_S6_PiPS3_21rocsparse_index_base_SB_SB_b.private_seg_size, 0
	.set _ZN9rocsparseL39bsrgeam_block_per_row_multipass_kernel2ILj256ELj32EdEEv20rocsparse_direction_iiiNS_24const_host_device_scalarIT1_EEPKiS6_PKS3_S4_S6_S6_S8_S6_PiPS3_21rocsparse_index_base_SB_SB_b.uses_vcc, 1
	.set _ZN9rocsparseL39bsrgeam_block_per_row_multipass_kernel2ILj256ELj32EdEEv20rocsparse_direction_iiiNS_24const_host_device_scalarIT1_EEPKiS6_PKS3_S4_S6_S6_S8_S6_PiPS3_21rocsparse_index_base_SB_SB_b.uses_flat_scratch, 0
	.set _ZN9rocsparseL39bsrgeam_block_per_row_multipass_kernel2ILj256ELj32EdEEv20rocsparse_direction_iiiNS_24const_host_device_scalarIT1_EEPKiS6_PKS3_S4_S6_S6_S8_S6_PiPS3_21rocsparse_index_base_SB_SB_b.has_dyn_sized_stack, 0
	.set _ZN9rocsparseL39bsrgeam_block_per_row_multipass_kernel2ILj256ELj32EdEEv20rocsparse_direction_iiiNS_24const_host_device_scalarIT1_EEPKiS6_PKS3_S4_S6_S6_S8_S6_PiPS3_21rocsparse_index_base_SB_SB_b.has_recursion, 0
	.set _ZN9rocsparseL39bsrgeam_block_per_row_multipass_kernel2ILj256ELj32EdEEv20rocsparse_direction_iiiNS_24const_host_device_scalarIT1_EEPKiS6_PKS3_S4_S6_S6_S8_S6_PiPS3_21rocsparse_index_base_SB_SB_b.has_indirect_call, 0
	.section	.AMDGPU.csdata,"",@progbits
; Kernel info:
; codeLenInByte = 2568
; TotalNumSgprs: 39
; NumVgprs: 32
; ScratchSize: 0
; MemoryBound: 0
; FloatMode: 240
; IeeeMode: 1
; LDSByteSize: 8200 bytes/workgroup (compile time only)
; SGPRBlocks: 0
; VGPRBlocks: 1
; NumSGPRsForWavesPerEU: 39
; NumVGPRsForWavesPerEU: 32
; NamedBarCnt: 0
; Occupancy: 16
; WaveLimiterHint : 1
; COMPUTE_PGM_RSRC2:SCRATCH_EN: 0
; COMPUTE_PGM_RSRC2:USER_SGPR: 2
; COMPUTE_PGM_RSRC2:TRAP_HANDLER: 0
; COMPUTE_PGM_RSRC2:TGID_X_EN: 1
; COMPUTE_PGM_RSRC2:TGID_Y_EN: 0
; COMPUTE_PGM_RSRC2:TGID_Z_EN: 0
; COMPUTE_PGM_RSRC2:TIDIG_COMP_CNT: 0
	.section	.text._ZN9rocsparseL39bsrgeam_wf_per_row_multipass_2_3_kernelILj256ELj2ELj32E21rocsparse_complex_numIfEEEv20rocsparse_direction_iiiNS_24const_host_device_scalarIT2_EEPKiS8_PKS5_S6_S8_S8_SA_S8_PiPS5_21rocsparse_index_base_SD_SD_b,"axG",@progbits,_ZN9rocsparseL39bsrgeam_wf_per_row_multipass_2_3_kernelILj256ELj2ELj32E21rocsparse_complex_numIfEEEv20rocsparse_direction_iiiNS_24const_host_device_scalarIT2_EEPKiS8_PKS5_S6_S8_S8_SA_S8_PiPS5_21rocsparse_index_base_SD_SD_b,comdat
	.globl	_ZN9rocsparseL39bsrgeam_wf_per_row_multipass_2_3_kernelILj256ELj2ELj32E21rocsparse_complex_numIfEEEv20rocsparse_direction_iiiNS_24const_host_device_scalarIT2_EEPKiS8_PKS5_S6_S8_S8_SA_S8_PiPS5_21rocsparse_index_base_SD_SD_b ; -- Begin function _ZN9rocsparseL39bsrgeam_wf_per_row_multipass_2_3_kernelILj256ELj2ELj32E21rocsparse_complex_numIfEEEv20rocsparse_direction_iiiNS_24const_host_device_scalarIT2_EEPKiS8_PKS5_S6_S8_S8_SA_S8_PiPS5_21rocsparse_index_base_SD_SD_b
	.p2align	8
	.type	_ZN9rocsparseL39bsrgeam_wf_per_row_multipass_2_3_kernelILj256ELj2ELj32E21rocsparse_complex_numIfEEEv20rocsparse_direction_iiiNS_24const_host_device_scalarIT2_EEPKiS8_PKS5_S6_S8_S8_SA_S8_PiPS5_21rocsparse_index_base_SD_SD_b,@function
_ZN9rocsparseL39bsrgeam_wf_per_row_multipass_2_3_kernelILj256ELj2ELj32E21rocsparse_complex_numIfEEEv20rocsparse_direction_iiiNS_24const_host_device_scalarIT2_EEPKiS8_PKS5_S6_S8_S8_SA_S8_PiPS5_21rocsparse_index_base_SD_SD_b: ; @_ZN9rocsparseL39bsrgeam_wf_per_row_multipass_2_3_kernelILj256ELj2ELj32E21rocsparse_complex_numIfEEEv20rocsparse_direction_iiiNS_24const_host_device_scalarIT2_EEPKiS8_PKS5_S6_S8_S8_SA_S8_PiPS5_21rocsparse_index_base_SD_SD_b
; %bb.0:
	s_clause 0x2
	s_load_b128 s[4:7], s[0:1], 0x68
	s_load_b64 s[10:11], s[0:1], 0x10
	s_load_b64 s[8:9], s[0:1], 0x30
	s_wait_kmcnt 0x0
	s_bitcmp1_b32 s7, 0
	s_cselect_b32 s2, -1, 0
	s_delay_alu instid0(SALU_CYCLE_1)
	s_xor_b32 s3, s2, -1
	s_and_b32 vcc_lo, exec_lo, s2
	s_mov_b32 s2, s10
	s_cbranch_vccz .LBB16_41
; %bb.1:
	v_cndmask_b32_e64 v1, 0, 1, s3
	s_and_not1_b32 vcc_lo, exec_lo, s3
	s_mov_b32 s3, s11
	s_cbranch_vccz .LBB16_42
.LBB16_2:
	s_delay_alu instid0(VALU_DEP_1)
	v_cmp_ne_u32_e32 vcc_lo, 1, v1
	s_mov_b32 s28, s8
	s_cbranch_vccz .LBB16_43
.LBB16_3:
	v_cmp_ne_u32_e32 vcc_lo, 1, v1
	s_mov_b32 s29, s9
	s_cbranch_vccnz .LBB16_5
.LBB16_4:
	s_load_b32 s29, s[8:9], 0x4
.LBB16_5:
	s_load_b96 s[24:26], s[0:1], 0x0
	s_bfe_u32 s7, ttmp6, 0x4000c
	s_wait_xcnt 0x0
	s_and_b32 s8, ttmp6, 15
	s_add_co_i32 s7, s7, 1
	s_getreg_b32 s9, hwreg(HW_REG_IB_STS2, 6, 4)
	s_mul_i32 s7, ttmp9, s7
	v_lshrrev_b32_e32 v1, 5, v0
	s_add_co_i32 s8, s8, s7
	s_cmp_eq_u32 s9, 0
	s_cselect_b32 s7, ttmp9, s8
	s_delay_alu instid0(SALU_CYCLE_1) | instskip(NEXT) | instid1(SALU_CYCLE_1)
	s_lshl_b32 s7, s7, 3
	v_and_or_b32 v7, 0x7fffff8, s7, v1
	s_mov_b32 s7, exec_lo
	s_wait_kmcnt 0x0
	s_delay_alu instid0(VALU_DEP_1)
	v_cmpx_gt_i32_e64 s25, v7
	s_cbranch_execz .LBB16_40
; %bb.6:
	s_clause 0x2
	s_load_b128 s[8:11], s[0:1], 0x18
	s_load_b128 s[12:15], s[0:1], 0x38
	s_load_b64 s[16:17], s[0:1], 0x50
	v_lshlrev_b32_e32 v8, 2, v7
	s_wait_kmcnt 0x0
	s_clause 0x1
	global_load_b64 v[2:3], v8, s[8:9]
	global_load_b64 v[4:5], v8, s[12:13]
	global_load_b32 v6, v7, s[16:17] scale_offset
	s_wait_loadcnt 0x2
	s_wait_xcnt 0x0
	v_subrev_nc_u32_e32 v7, s4, v2
	v_cmp_lt_i32_e32 vcc_lo, v2, v3
	v_mov_b32_e32 v2, s26
	s_and_saveexec_b32 s7, vcc_lo
	s_cbranch_execz .LBB16_8
; %bb.7:
	global_load_b32 v2, v7, s[10:11] scale_offset
	s_wait_loadcnt 0x0
	v_subrev_nc_u32_e32 v2, s4, v2
.LBB16_8:
	s_or_b32 exec_lo, exec_lo, s7
	s_clause 0x2
	s_load_b128 s[16:19], s[0:1], 0x58
	s_load_b64 s[8:9], s[0:1], 0x28
	s_load_b64 s[12:13], s[0:1], 0x48
	s_wait_loadcnt 0x1
	v_subrev_nc_u32_e32 v8, s5, v4
	v_cmp_lt_i32_e32 vcc_lo, v4, v5
	v_mov_b32_e32 v4, s26
	s_wait_xcnt 0x0
	s_and_saveexec_b32 s0, vcc_lo
	s_cbranch_execz .LBB16_10
; %bb.9:
	global_load_b32 v4, v8, s[14:15] scale_offset
	s_wait_loadcnt 0x0
	v_subrev_nc_u32_e32 v4, s5, v4
.LBB16_10:
	s_or_b32 exec_lo, exec_lo, s0
	v_dual_lshlrev_b32 v10, 10, v1 :: v_dual_bitop2_b32 v1, 31, v0 bitop3:0x40
	s_delay_alu instid0(VALU_DEP_2) | instskip(SKIP_4) | instid1(VALU_DEP_3)
	v_min_i32_e32 v18, v4, v2
	v_mbcnt_lo_u32_b32 v2, -1, 0
	s_movk_i32 s0, 0xe0
	v_subrev_nc_u32_e32 v12, s4, v3
	v_and_or_b32 v11, v0, s0, 0x2000
	v_dual_add_nc_u32 v16, v8, v1 :: v_dual_bitop2_b32 v3, 16, v2 bitop3:0x14
	v_bitop3_b32 v0, v0, 31, v0 bitop3:0xc
	v_add_nc_u32_e32 v20, s6, v1
	v_subrev_nc_u32_e32 v13, s5, v5
	s_wait_loadcnt 0x0
	v_subrev_nc_u32_e32 v14, s6, v6
	v_cmp_gt_i32_e32 vcc_lo, 32, v3
	v_lshrrev_b32_e64 v19, v0, -1
	v_xor_b32_e32 v0, 8, v2
	v_xor_b32_e32 v4, 4, v2
	s_mov_b32 s20, 0
	v_cndmask_b32_e32 v3, v2, v3, vcc_lo
	s_mov_b32 s21, s20
	v_cmp_gt_i32_e32 vcc_lo, 32, v0
	v_xor_b32_e32 v5, 2, v2
	s_mov_b32 s22, s20
	s_mov_b32 s23, s20
	v_dual_cndmask_b32 v0, v2, v0 :: v_dual_add_nc_u32 v15, v7, v1
	v_cmp_gt_i32_e32 vcc_lo, 32, v4
	v_xor_b32_e32 v6, 1, v2
	v_lshl_or_b32 v17, v1, 5, v10
	s_delay_alu instid0(VALU_DEP_4)
	v_dual_lshlrev_b32 v21, 2, v3 :: v_dual_lshlrev_b32 v22, 2, v0
	v_cndmask_b32_e32 v4, v2, v4, vcc_lo
	v_cmp_gt_i32_e32 vcc_lo, 32, v5
	s_cmp_lg_u32 s24, 0
	v_dual_mov_b32 v9, 0 :: v_dual_mov_b32 v27, 1
	s_cselect_b32 s1, -1, 0
	v_cndmask_b32_e32 v5, v2, v5, vcc_lo
	v_cmp_gt_i32_e32 vcc_lo, 32, v6
	s_xor_b32 s30, s3, 0x80000000
	v_add_nc_u32_e32 v26, v11, v1
	s_xor_b32 s34, s29, 0x80000000
	s_cmp_eq_u32 s24, 0
	v_dual_cndmask_b32 v2, v2, v6 :: v_dual_lshlrev_b32 v23, 2, v4
	v_lshlrev_b32_e32 v24, 2, v5
	s_cselect_b32 s6, 8, 16
	s_cselect_b32 s7, 16, 8
	s_delay_alu instid0(VALU_DEP_2)
	v_lshlrev_b32_e32 v25, 2, v2
	v_mov_b64_e32 v[0:1], s[20:21]
	v_mov_b64_e32 v[2:3], s[22:23]
	s_mov_b32 s31, s2
	s_mov_b32 s35, s28
	s_branch .LBB16_12
.LBB16_11:                              ;   in Loop: Header=BB16_12 Depth=1
	s_wait_xcnt 0x0
	s_or_b32 exec_lo, exec_lo, s21
	ds_bpermute_b32 v4, v21, v28
	s_bcnt1_i32_b32 s21, vcc_lo
	s_wait_dscnt 0x0
	v_dual_add_nc_u32 v14, s21, v14 :: v_dual_min_i32 v4, v4, v28
	ds_bpermute_b32 v5, v22, v4
	s_wait_dscnt 0x0
	v_min_i32_e32 v4, v5, v4
	ds_bpermute_b32 v5, v23, v4
	s_wait_dscnt 0x0
	v_min_i32_e32 v4, v5, v4
	;; [unrolled: 3-line block ×4, first 2 shown]
	s_delay_alu instid0(VALU_DEP_1) | instskip(SKIP_1) | instid1(SALU_CYCLE_1)
	v_cmp_le_i32_e64 s0, s26, v18
	s_or_b32 s20, s0, s20
	s_and_not1_b32 exec_lo, exec_lo, s20
	s_cbranch_execz .LBB16_40
.LBB16_12:                              ; =>This Loop Header: Depth=1
                                        ;     Child Loop BB16_15 Depth 2
                                        ;     Child Loop BB16_28 Depth 2
	v_mov_b32_e32 v28, s26
	s_mov_b32 s21, exec_lo
	ds_store_b8 v26, v9
	ds_store_b128 v17, v[0:3]
	ds_store_b128 v17, v[0:3] offset:16
	s_wait_dscnt 0x0
	v_cmpx_lt_i32_e64 v15, v12
	s_cbranch_execz .LBB16_25
; %bb.13:                               ;   in Loop: Header=BB16_12 Depth=1
	v_dual_lshlrev_b32 v8, 2, v15 :: v_dual_mov_b32 v28, s26
	s_mov_b32 s22, 0
	s_branch .LBB16_15
.LBB16_14:                              ;   in Loop: Header=BB16_15 Depth=2
	s_or_b32 exec_lo, exec_lo, s24
	s_delay_alu instid0(SALU_CYCLE_1) | instskip(NEXT) | instid1(SALU_CYCLE_1)
	s_and_b32 s0, exec_lo, s23
	s_or_b32 s22, s0, s22
	s_delay_alu instid0(SALU_CYCLE_1)
	s_and_not1_b32 exec_lo, exec_lo, s22
	s_cbranch_execz .LBB16_24
.LBB16_15:                              ;   Parent Loop BB16_12 Depth=1
                                        ; =>  This Inner Loop Header: Depth=2
	global_load_b32 v4, v15, s[10:11] scale_offset
	s_mov_b32 s23, exec_lo
	s_wait_loadcnt 0x0
	v_subrev_nc_u32_e32 v5, s4, v4
	s_delay_alu instid0(VALU_DEP_1) | instskip(NEXT) | instid1(VALU_DEP_1)
	v_sub_nc_u32_e32 v4, v5, v18
	v_cmp_gt_u32_e64 s0, 32, v4
	s_wait_xcnt 0x0
	v_cmpx_lt_u32_e32 31, v4
	s_xor_b32 s23, exec_lo, s23
; %bb.16:                               ;   in Loop: Header=BB16_15 Depth=2
	v_min_i32_e32 v28, v5, v28
                                        ; implicit-def: $vgpr4
; %bb.17:                               ;   in Loop: Header=BB16_15 Depth=2
	s_and_not1_saveexec_b32 s23, s23
	s_cbranch_execz .LBB16_22
; %bb.18:                               ;   in Loop: Header=BB16_15 Depth=2
	s_wait_kmcnt 0x0
	global_load_b64 v[30:31], v8, s[8:9] scale_offset
	v_mov_b64_e32 v[6:7], s[30:31]
	v_mov_b64_e32 v[34:35], s[2:3]
	v_lshlrev_b32_e32 v5, 5, v4
	s_mov_b32 s24, -1
	s_and_not1_b32 vcc_lo, exec_lo, s1
	s_wait_loadcnt 0x0
	s_delay_alu instid0(VALU_DEP_3) | instskip(SKIP_2) | instid1(VALU_DEP_3)
	v_pk_mul_f32 v[32:33], v[30:31], v[6:7] op_sel:[1,0]
	v_dual_add_nc_u32 v7, v11, v4 :: v_dual_add_nc_u32 v6, v10, v5
	v_lshl_add_u64 v[4:5], v[8:9], 3, s[8:9]
	v_pk_fma_f32 v[30:31], v[34:35], v[30:31], v[32:33] op_sel_hi:[1,0,1]
	ds_store_b8 v7, v27
	ds_store_b64 v6, v[30:31]
	s_cbranch_vccnz .LBB16_20
; %bb.19:                               ;   in Loop: Header=BB16_15 Depth=2
	s_clause 0x1
	global_load_b128 v[30:33], v[4:5], off offset:8
	global_load_b64 v[34:35], v[4:5], off offset:24
	v_mov_b64_e32 v[36:37], s[30:31]
	v_mov_b64_e32 v[40:41], s[2:3]
	s_mov_b32 s24, 0
	s_wait_loadcnt 0x1
	v_mov_b32_e32 v38, v33
	s_delay_alu instid0(VALU_DEP_3) | instskip(NEXT) | instid1(VALU_DEP_2)
	v_pk_mul_f32 v[42:43], v[30:31], v[36:37] op_sel:[1,0]
	v_pk_mul_f32 v[38:39], v[38:39], v[36:37] op_sel_hi:[0,1]
	s_wait_loadcnt 0x0
	v_pk_mul_f32 v[36:37], v[34:35], v[36:37] op_sel:[1,0]
	s_delay_alu instid0(VALU_DEP_3) | instskip(NEXT) | instid1(VALU_DEP_3)
	v_pk_fma_f32 v[30:31], v[40:41], v[30:31], v[42:43] op_sel_hi:[1,0,1]
	v_pk_fma_f32 v[32:33], v[40:41], v[32:33], v[38:39] op_sel_hi:[1,0,1]
	s_delay_alu instid0(VALU_DEP_3)
	v_pk_fma_f32 v[34:35], v[40:41], v[34:35], v[36:37] op_sel_hi:[1,0,1]
	ds_store_2addr_b64 v6, v[32:33], v[30:31] offset0:1 offset1:2
	ds_store_b64 v6, v[34:35] offset:24
.LBB16_20:                              ;   in Loop: Header=BB16_15 Depth=2
	s_and_not1_b32 vcc_lo, exec_lo, s24
	s_cbranch_vccnz .LBB16_22
; %bb.21:                               ;   in Loop: Header=BB16_15 Depth=2
	s_clause 0x1
	global_load_b128 v[30:33], v[4:5], off offset:8
	global_load_b64 v[34:35], v[4:5], off offset:24
	s_wait_xcnt 0x0
	v_mov_b64_e32 v[4:5], s[30:31]
	v_mov_b64_e32 v[38:39], s[2:3]
	s_wait_loadcnt 0x1
	v_mov_b32_e32 v36, v33
	s_delay_alu instid0(VALU_DEP_3) | instskip(NEXT) | instid1(VALU_DEP_2)
	v_pk_mul_f32 v[40:41], v[30:31], v[4:5] op_sel:[1,0]
	v_pk_mul_f32 v[36:37], v[36:37], v[4:5] op_sel_hi:[0,1]
	s_wait_loadcnt 0x0
	v_pk_mul_f32 v[4:5], v[34:35], v[4:5] op_sel:[1,0]
	s_delay_alu instid0(VALU_DEP_3) | instskip(NEXT) | instid1(VALU_DEP_3)
	v_pk_fma_f32 v[30:31], v[38:39], v[30:31], v[40:41] op_sel_hi:[1,0,1]
	v_pk_fma_f32 v[32:33], v[38:39], v[32:33], v[36:37] op_sel_hi:[1,0,1]
	s_delay_alu instid0(VALU_DEP_3)
	v_pk_fma_f32 v[4:5], v[38:39], v[34:35], v[4:5] op_sel_hi:[1,0,1]
	ds_store_2addr_b64 v6, v[30:31], v[32:33] offset0:1 offset1:2
	ds_store_b64 v6, v[4:5] offset:24
.LBB16_22:                              ;   in Loop: Header=BB16_15 Depth=2
	s_wait_xcnt 0x0
	s_or_b32 exec_lo, exec_lo, s23
	s_mov_b32 s23, -1
	s_and_saveexec_b32 s24, s0
	s_cbranch_execz .LBB16_14
; %bb.23:                               ;   in Loop: Header=BB16_15 Depth=2
	v_add_nc_u32_e32 v15, 32, v15
	v_add_nc_u32_e32 v8, 0x80, v8
	s_delay_alu instid0(VALU_DEP_2)
	v_cmp_ge_i32_e32 vcc_lo, v15, v12
	s_or_not1_b32 s23, vcc_lo, exec_lo
	s_branch .LBB16_14
.LBB16_24:                              ;   in Loop: Header=BB16_12 Depth=1
	s_or_b32 exec_lo, exec_lo, s22
.LBB16_25:                              ;   in Loop: Header=BB16_12 Depth=1
	s_delay_alu instid0(SALU_CYCLE_1) | instskip(NEXT) | instid1(SALU_CYCLE_1)
	s_or_b32 exec_lo, exec_lo, s21
	s_mov_b32 s21, exec_lo
	s_wait_dscnt 0x0
	v_cmpx_lt_i32_e64 v16, v13
	s_cbranch_execz .LBB16_38
; %bb.26:                               ;   in Loop: Header=BB16_12 Depth=1
	v_lshlrev_b32_e32 v8, 2, v16
	s_mov_b32 s22, 0
	s_branch .LBB16_28
.LBB16_27:                              ;   in Loop: Header=BB16_28 Depth=2
	s_or_b32 exec_lo, exec_lo, s24
	s_delay_alu instid0(SALU_CYCLE_1) | instskip(NEXT) | instid1(SALU_CYCLE_1)
	s_and_b32 s0, exec_lo, s23
	s_or_b32 s22, s0, s22
	s_delay_alu instid0(SALU_CYCLE_1)
	s_and_not1_b32 exec_lo, exec_lo, s22
	s_cbranch_execz .LBB16_37
.LBB16_28:                              ;   Parent Loop BB16_12 Depth=1
                                        ; =>  This Inner Loop Header: Depth=2
	global_load_b32 v4, v16, s[14:15] scale_offset
	s_mov_b32 s23, exec_lo
	s_wait_loadcnt 0x0
	v_subrev_nc_u32_e32 v4, s5, v4
	s_delay_alu instid0(VALU_DEP_1) | instskip(NEXT) | instid1(VALU_DEP_1)
	v_sub_nc_u32_e32 v30, v4, v18
	v_cmp_gt_u32_e64 s0, 32, v30
	s_wait_xcnt 0x0
	v_cmpx_lt_u32_e32 31, v30
	s_xor_b32 s23, exec_lo, s23
; %bb.29:                               ;   in Loop: Header=BB16_28 Depth=2
	v_min_i32_e32 v28, v4, v28
                                        ; implicit-def: $vgpr30
; %bb.30:                               ;   in Loop: Header=BB16_28 Depth=2
	s_and_not1_saveexec_b32 s23, s23
	s_cbranch_execz .LBB16_35
; %bb.31:                               ;   in Loop: Header=BB16_28 Depth=2
	s_wait_kmcnt 0x0
	global_load_b64 v[32:33], v8, s[12:13] scale_offset
	v_dual_lshlrev_b32 v4, 5, v30 :: v_dual_add_nc_u32 v36, v11, v30
	v_mov_b64_e32 v[34:35], s[28:29]
	s_mov_b32 s24, -1
	s_and_not1_b32 vcc_lo, exec_lo, s1
	s_delay_alu instid0(VALU_DEP_2) | instskip(SKIP_4) | instid1(VALU_DEP_1)
	v_add_nc_u32_e32 v29, v10, v4
	ds_load_b128 v[4:7], v29
	s_wait_loadcnt_dscnt 0x0
	v_pk_fma_f32 v[4:5], v[34:35], v[32:33], v[4:5] op_sel_hi:[1,0,1]
	v_mov_b64_e32 v[34:35], s[34:35]
	v_pk_fma_f32 v[30:31], v[34:35], v[32:33], v[4:5] op_sel:[0,1,0]
	v_lshl_add_u64 v[4:5], v[8:9], 3, s[12:13]
	ds_store_b8 v36, v27
	ds_store_b64 v29, v[30:31]
	s_cbranch_vccnz .LBB16_33
; %bb.32:                               ;   in Loop: Header=BB16_28 Depth=2
	s_clause 0x1
	global_load_b128 v[30:33], v[4:5], off offset:8
	global_load_b64 v[38:39], v[4:5], off offset:24
	ds_load_b128 v[34:37], v29 offset:16
	v_mov_b64_e32 v[40:41], s[28:29]
	v_mov_b64_e32 v[42:43], s[34:35]
	s_mov_b32 s24, 0
	s_wait_loadcnt 0x1
	s_delay_alu instid0(VALU_DEP_2)
	v_pk_fma_f32 v[44:45], v[40:41], v[32:33], v[6:7] op_sel_hi:[1,0,1]
	v_mov_b32_e32 v32, v33
	s_wait_dscnt 0x0
	v_pk_fma_f32 v[34:35], v[40:41], v[30:31], v[34:35] op_sel_hi:[1,0,1]
	s_wait_loadcnt 0x0
	v_pk_fma_f32 v[36:37], v[40:41], v[38:39], v[36:37] op_sel_hi:[1,0,1]
	v_pk_fma_f32 v[32:33], v[42:43], v[32:33], v[44:45] op_sel_hi:[1,0,1]
	s_delay_alu instid0(VALU_DEP_3) | instskip(NEXT) | instid1(VALU_DEP_3)
	v_pk_fma_f32 v[30:31], v[42:43], v[30:31], v[34:35] op_sel:[0,1,0]
	v_pk_fma_f32 v[34:35], v[42:43], v[38:39], v[36:37] op_sel:[0,1,0]
	ds_store_2addr_b64 v29, v[32:33], v[30:31] offset0:1 offset1:2
	ds_store_b64 v29, v[34:35] offset:24
.LBB16_33:                              ;   in Loop: Header=BB16_28 Depth=2
	s_and_not1_b32 vcc_lo, exec_lo, s24
	s_cbranch_vccnz .LBB16_35
; %bb.34:                               ;   in Loop: Header=BB16_28 Depth=2
	s_clause 0x1
	global_load_b128 v[30:33], v[4:5], off offset:8
	global_load_b64 v[38:39], v[4:5], off offset:24
	ds_load_b128 v[34:37], v29 offset:16
	s_wait_xcnt 0x0
	v_mov_b64_e32 v[4:5], s[28:29]
	v_mov_b64_e32 v[40:41], s[34:35]
	s_wait_loadcnt 0x1
	s_delay_alu instid0(VALU_DEP_2)
	v_pk_fma_f32 v[6:7], v[4:5], v[30:31], v[6:7] op_sel_hi:[1,0,1]
	s_wait_dscnt 0x0
	v_pk_fma_f32 v[34:35], v[4:5], v[32:33], v[34:35] op_sel_hi:[1,0,1]
	v_mov_b32_e32 v32, v33
	s_wait_loadcnt 0x0
	v_pk_fma_f32 v[4:5], v[4:5], v[38:39], v[36:37] op_sel_hi:[1,0,1]
	v_pk_fma_f32 v[6:7], v[40:41], v[30:31], v[6:7] op_sel:[0,1,0]
	s_delay_alu instid0(VALU_DEP_3) | instskip(NEXT) | instid1(VALU_DEP_3)
	v_pk_fma_f32 v[30:31], v[40:41], v[32:33], v[34:35] op_sel_hi:[1,0,1]
	v_pk_fma_f32 v[4:5], v[40:41], v[38:39], v[4:5] op_sel:[0,1,0]
	ds_store_2addr_b64 v29, v[6:7], v[30:31] offset0:1 offset1:2
	ds_store_b64 v29, v[4:5] offset:24
.LBB16_35:                              ;   in Loop: Header=BB16_28 Depth=2
	s_wait_xcnt 0x0
	s_or_b32 exec_lo, exec_lo, s23
	s_mov_b32 s23, -1
	s_and_saveexec_b32 s24, s0
	s_cbranch_execz .LBB16_27
; %bb.36:                               ;   in Loop: Header=BB16_28 Depth=2
	v_add_nc_u32_e32 v16, 32, v16
	v_add_nc_u32_e32 v8, 0x80, v8
	s_delay_alu instid0(VALU_DEP_2)
	v_cmp_ge_i32_e32 vcc_lo, v16, v13
	s_or_not1_b32 s23, vcc_lo, exec_lo
	s_branch .LBB16_27
.LBB16_37:                              ;   in Loop: Header=BB16_12 Depth=1
	s_or_b32 exec_lo, exec_lo, s22
.LBB16_38:                              ;   in Loop: Header=BB16_12 Depth=1
	s_delay_alu instid0(SALU_CYCLE_1)
	s_or_b32 exec_lo, exec_lo, s21
	s_wait_dscnt 0x0
	ds_load_u8 v4, v26
	s_mov_b32 s21, exec_lo
	s_wait_dscnt 0x0
	v_and_b32_e32 v5, 1, v4
	v_cmp_ne_u16_e32 vcc_lo, 0, v4
	s_delay_alu instid0(VALU_DEP_2)
	v_cmpx_eq_u32_e32 1, v5
	s_cbranch_execz .LBB16_11
; %bb.39:                               ;   in Loop: Header=BB16_12 Depth=1
	ds_load_2addr_b64 v[4:7], v17 offset1:3
	v_dual_add_nc_u32 v29, s6, v17 :: v_dual_bitop2_b32 v8, vcc_lo, v19 bitop3:0x40
	v_dual_add_nc_u32 v34, s7, v17 :: v_dual_add_nc_u32 v18, v20, v18
	s_delay_alu instid0(VALU_DEP_2)
	v_bcnt_u32_b32 v8, v8, 0
	s_wait_dscnt 0x0
	v_dual_mov_b32 v30, v4 :: v_dual_mov_b32 v31, v5
	ds_load_b64 v[32:33], v29
	ds_load_b64 v[4:5], v34
	v_add3_u32 v29, v14, v8, -1
	s_delay_alu instid0(VALU_DEP_1) | instskip(SKIP_1) | instid1(VALU_DEP_1)
	v_lshlrev_b32_e32 v8, 2, v29
	s_wait_kmcnt 0x0
	v_lshl_add_u64 v[34:35], v[8:9], 3, s[18:19]
	global_store_b32 v29, v18, s[16:17] scale_offset
	s_wait_dscnt 0x1
	global_store_b128 v[34:35], v[30:33], off
	s_wait_dscnt 0x0
	global_store_b128 v[34:35], v[4:7], off offset:16
	s_branch .LBB16_11
.LBB16_40:
	s_endpgm
.LBB16_41:
	s_load_b32 s2, s[10:11], 0x0
	v_cndmask_b32_e64 v1, 0, 1, s3
	s_and_not1_b32 vcc_lo, exec_lo, s3
	s_mov_b32 s3, s11
	s_cbranch_vccnz .LBB16_2
.LBB16_42:
	s_load_b32 s3, s[10:11], 0x4
	v_cmp_ne_u32_e32 vcc_lo, 1, v1
	s_mov_b32 s28, s8
	s_cbranch_vccnz .LBB16_3
.LBB16_43:
	s_load_b32 s28, s[8:9], 0x0
	v_cmp_ne_u32_e32 vcc_lo, 1, v1
	s_mov_b32 s29, s9
	s_cbranch_vccz .LBB16_4
	s_branch .LBB16_5
	.section	.rodata,"a",@progbits
	.p2align	6, 0x0
	.amdhsa_kernel _ZN9rocsparseL39bsrgeam_wf_per_row_multipass_2_3_kernelILj256ELj2ELj32E21rocsparse_complex_numIfEEEv20rocsparse_direction_iiiNS_24const_host_device_scalarIT2_EEPKiS8_PKS5_S6_S8_S8_SA_S8_PiPS5_21rocsparse_index_base_SD_SD_b
		.amdhsa_group_segment_fixed_size 8448
		.amdhsa_private_segment_fixed_size 0
		.amdhsa_kernarg_size 120
		.amdhsa_user_sgpr_count 2
		.amdhsa_user_sgpr_dispatch_ptr 0
		.amdhsa_user_sgpr_queue_ptr 0
		.amdhsa_user_sgpr_kernarg_segment_ptr 1
		.amdhsa_user_sgpr_dispatch_id 0
		.amdhsa_user_sgpr_kernarg_preload_length 0
		.amdhsa_user_sgpr_kernarg_preload_offset 0
		.amdhsa_user_sgpr_private_segment_size 0
		.amdhsa_wavefront_size32 1
		.amdhsa_uses_dynamic_stack 0
		.amdhsa_enable_private_segment 0
		.amdhsa_system_sgpr_workgroup_id_x 1
		.amdhsa_system_sgpr_workgroup_id_y 0
		.amdhsa_system_sgpr_workgroup_id_z 0
		.amdhsa_system_sgpr_workgroup_info 0
		.amdhsa_system_vgpr_workitem_id 0
		.amdhsa_next_free_vgpr 46
		.amdhsa_next_free_sgpr 36
		.amdhsa_named_barrier_count 0
		.amdhsa_reserve_vcc 1
		.amdhsa_float_round_mode_32 0
		.amdhsa_float_round_mode_16_64 0
		.amdhsa_float_denorm_mode_32 3
		.amdhsa_float_denorm_mode_16_64 3
		.amdhsa_fp16_overflow 0
		.amdhsa_memory_ordered 1
		.amdhsa_forward_progress 1
		.amdhsa_inst_pref_size 18
		.amdhsa_round_robin_scheduling 0
		.amdhsa_exception_fp_ieee_invalid_op 0
		.amdhsa_exception_fp_denorm_src 0
		.amdhsa_exception_fp_ieee_div_zero 0
		.amdhsa_exception_fp_ieee_overflow 0
		.amdhsa_exception_fp_ieee_underflow 0
		.amdhsa_exception_fp_ieee_inexact 0
		.amdhsa_exception_int_div_zero 0
	.end_amdhsa_kernel
	.section	.text._ZN9rocsparseL39bsrgeam_wf_per_row_multipass_2_3_kernelILj256ELj2ELj32E21rocsparse_complex_numIfEEEv20rocsparse_direction_iiiNS_24const_host_device_scalarIT2_EEPKiS8_PKS5_S6_S8_S8_SA_S8_PiPS5_21rocsparse_index_base_SD_SD_b,"axG",@progbits,_ZN9rocsparseL39bsrgeam_wf_per_row_multipass_2_3_kernelILj256ELj2ELj32E21rocsparse_complex_numIfEEEv20rocsparse_direction_iiiNS_24const_host_device_scalarIT2_EEPKiS8_PKS5_S6_S8_S8_SA_S8_PiPS5_21rocsparse_index_base_SD_SD_b,comdat
.Lfunc_end16:
	.size	_ZN9rocsparseL39bsrgeam_wf_per_row_multipass_2_3_kernelILj256ELj2ELj32E21rocsparse_complex_numIfEEEv20rocsparse_direction_iiiNS_24const_host_device_scalarIT2_EEPKiS8_PKS5_S6_S8_S8_SA_S8_PiPS5_21rocsparse_index_base_SD_SD_b, .Lfunc_end16-_ZN9rocsparseL39bsrgeam_wf_per_row_multipass_2_3_kernelILj256ELj2ELj32E21rocsparse_complex_numIfEEEv20rocsparse_direction_iiiNS_24const_host_device_scalarIT2_EEPKiS8_PKS5_S6_S8_S8_SA_S8_PiPS5_21rocsparse_index_base_SD_SD_b
                                        ; -- End function
	.set _ZN9rocsparseL39bsrgeam_wf_per_row_multipass_2_3_kernelILj256ELj2ELj32E21rocsparse_complex_numIfEEEv20rocsparse_direction_iiiNS_24const_host_device_scalarIT2_EEPKiS8_PKS5_S6_S8_S8_SA_S8_PiPS5_21rocsparse_index_base_SD_SD_b.num_vgpr, 46
	.set _ZN9rocsparseL39bsrgeam_wf_per_row_multipass_2_3_kernelILj256ELj2ELj32E21rocsparse_complex_numIfEEEv20rocsparse_direction_iiiNS_24const_host_device_scalarIT2_EEPKiS8_PKS5_S6_S8_S8_SA_S8_PiPS5_21rocsparse_index_base_SD_SD_b.num_agpr, 0
	.set _ZN9rocsparseL39bsrgeam_wf_per_row_multipass_2_3_kernelILj256ELj2ELj32E21rocsparse_complex_numIfEEEv20rocsparse_direction_iiiNS_24const_host_device_scalarIT2_EEPKiS8_PKS5_S6_S8_S8_SA_S8_PiPS5_21rocsparse_index_base_SD_SD_b.numbered_sgpr, 36
	.set _ZN9rocsparseL39bsrgeam_wf_per_row_multipass_2_3_kernelILj256ELj2ELj32E21rocsparse_complex_numIfEEEv20rocsparse_direction_iiiNS_24const_host_device_scalarIT2_EEPKiS8_PKS5_S6_S8_S8_SA_S8_PiPS5_21rocsparse_index_base_SD_SD_b.num_named_barrier, 0
	.set _ZN9rocsparseL39bsrgeam_wf_per_row_multipass_2_3_kernelILj256ELj2ELj32E21rocsparse_complex_numIfEEEv20rocsparse_direction_iiiNS_24const_host_device_scalarIT2_EEPKiS8_PKS5_S6_S8_S8_SA_S8_PiPS5_21rocsparse_index_base_SD_SD_b.private_seg_size, 0
	.set _ZN9rocsparseL39bsrgeam_wf_per_row_multipass_2_3_kernelILj256ELj2ELj32E21rocsparse_complex_numIfEEEv20rocsparse_direction_iiiNS_24const_host_device_scalarIT2_EEPKiS8_PKS5_S6_S8_S8_SA_S8_PiPS5_21rocsparse_index_base_SD_SD_b.uses_vcc, 1
	.set _ZN9rocsparseL39bsrgeam_wf_per_row_multipass_2_3_kernelILj256ELj2ELj32E21rocsparse_complex_numIfEEEv20rocsparse_direction_iiiNS_24const_host_device_scalarIT2_EEPKiS8_PKS5_S6_S8_S8_SA_S8_PiPS5_21rocsparse_index_base_SD_SD_b.uses_flat_scratch, 0
	.set _ZN9rocsparseL39bsrgeam_wf_per_row_multipass_2_3_kernelILj256ELj2ELj32E21rocsparse_complex_numIfEEEv20rocsparse_direction_iiiNS_24const_host_device_scalarIT2_EEPKiS8_PKS5_S6_S8_S8_SA_S8_PiPS5_21rocsparse_index_base_SD_SD_b.has_dyn_sized_stack, 0
	.set _ZN9rocsparseL39bsrgeam_wf_per_row_multipass_2_3_kernelILj256ELj2ELj32E21rocsparse_complex_numIfEEEv20rocsparse_direction_iiiNS_24const_host_device_scalarIT2_EEPKiS8_PKS5_S6_S8_S8_SA_S8_PiPS5_21rocsparse_index_base_SD_SD_b.has_recursion, 0
	.set _ZN9rocsparseL39bsrgeam_wf_per_row_multipass_2_3_kernelILj256ELj2ELj32E21rocsparse_complex_numIfEEEv20rocsparse_direction_iiiNS_24const_host_device_scalarIT2_EEPKiS8_PKS5_S6_S8_S8_SA_S8_PiPS5_21rocsparse_index_base_SD_SD_b.has_indirect_call, 0
	.section	.AMDGPU.csdata,"",@progbits
; Kernel info:
; codeLenInByte = 2244
; TotalNumSgprs: 38
; NumVgprs: 46
; ScratchSize: 0
; MemoryBound: 0
; FloatMode: 240
; IeeeMode: 1
; LDSByteSize: 8448 bytes/workgroup (compile time only)
; SGPRBlocks: 0
; VGPRBlocks: 2
; NumSGPRsForWavesPerEU: 38
; NumVGPRsForWavesPerEU: 46
; NamedBarCnt: 0
; Occupancy: 16
; WaveLimiterHint : 1
; COMPUTE_PGM_RSRC2:SCRATCH_EN: 0
; COMPUTE_PGM_RSRC2:USER_SGPR: 2
; COMPUTE_PGM_RSRC2:TRAP_HANDLER: 0
; COMPUTE_PGM_RSRC2:TGID_X_EN: 1
; COMPUTE_PGM_RSRC2:TGID_Y_EN: 0
; COMPUTE_PGM_RSRC2:TGID_Z_EN: 0
; COMPUTE_PGM_RSRC2:TIDIG_COMP_CNT: 0
	.section	.text._ZN9rocsparseL39bsrgeam_wf_per_row_multipass_2_3_kernelILj256ELj2ELj64E21rocsparse_complex_numIfEEEv20rocsparse_direction_iiiNS_24const_host_device_scalarIT2_EEPKiS8_PKS5_S6_S8_S8_SA_S8_PiPS5_21rocsparse_index_base_SD_SD_b,"axG",@progbits,_ZN9rocsparseL39bsrgeam_wf_per_row_multipass_2_3_kernelILj256ELj2ELj64E21rocsparse_complex_numIfEEEv20rocsparse_direction_iiiNS_24const_host_device_scalarIT2_EEPKiS8_PKS5_S6_S8_S8_SA_S8_PiPS5_21rocsparse_index_base_SD_SD_b,comdat
	.globl	_ZN9rocsparseL39bsrgeam_wf_per_row_multipass_2_3_kernelILj256ELj2ELj64E21rocsparse_complex_numIfEEEv20rocsparse_direction_iiiNS_24const_host_device_scalarIT2_EEPKiS8_PKS5_S6_S8_S8_SA_S8_PiPS5_21rocsparse_index_base_SD_SD_b ; -- Begin function _ZN9rocsparseL39bsrgeam_wf_per_row_multipass_2_3_kernelILj256ELj2ELj64E21rocsparse_complex_numIfEEEv20rocsparse_direction_iiiNS_24const_host_device_scalarIT2_EEPKiS8_PKS5_S6_S8_S8_SA_S8_PiPS5_21rocsparse_index_base_SD_SD_b
	.p2align	8
	.type	_ZN9rocsparseL39bsrgeam_wf_per_row_multipass_2_3_kernelILj256ELj2ELj64E21rocsparse_complex_numIfEEEv20rocsparse_direction_iiiNS_24const_host_device_scalarIT2_EEPKiS8_PKS5_S6_S8_S8_SA_S8_PiPS5_21rocsparse_index_base_SD_SD_b,@function
_ZN9rocsparseL39bsrgeam_wf_per_row_multipass_2_3_kernelILj256ELj2ELj64E21rocsparse_complex_numIfEEEv20rocsparse_direction_iiiNS_24const_host_device_scalarIT2_EEPKiS8_PKS5_S6_S8_S8_SA_S8_PiPS5_21rocsparse_index_base_SD_SD_b: ; @_ZN9rocsparseL39bsrgeam_wf_per_row_multipass_2_3_kernelILj256ELj2ELj64E21rocsparse_complex_numIfEEEv20rocsparse_direction_iiiNS_24const_host_device_scalarIT2_EEPKiS8_PKS5_S6_S8_S8_SA_S8_PiPS5_21rocsparse_index_base_SD_SD_b
; %bb.0:
	s_clause 0x2
	s_load_b128 s[4:7], s[0:1], 0x68
	s_load_b64 s[10:11], s[0:1], 0x10
	s_load_b64 s[8:9], s[0:1], 0x30
	s_wait_kmcnt 0x0
	s_bitcmp1_b32 s7, 0
	s_cselect_b32 s2, -1, 0
	s_delay_alu instid0(SALU_CYCLE_1)
	s_xor_b32 s3, s2, -1
	s_and_b32 vcc_lo, exec_lo, s2
	s_mov_b32 s2, s10
	s_cbranch_vccz .LBB17_41
; %bb.1:
	v_cndmask_b32_e64 v1, 0, 1, s3
	s_and_not1_b32 vcc_lo, exec_lo, s3
	s_mov_b32 s3, s11
	s_cbranch_vccz .LBB17_42
.LBB17_2:
	s_delay_alu instid0(VALU_DEP_1)
	v_cmp_ne_u32_e32 vcc_lo, 1, v1
	s_mov_b32 s28, s8
	s_cbranch_vccz .LBB17_43
.LBB17_3:
	v_cmp_ne_u32_e32 vcc_lo, 1, v1
	s_mov_b32 s29, s9
	s_cbranch_vccnz .LBB17_5
.LBB17_4:
	s_load_b32 s29, s[8:9], 0x4
.LBB17_5:
	s_load_b96 s[24:26], s[0:1], 0x0
	s_bfe_u32 s7, ttmp6, 0x4000c
	s_wait_xcnt 0x0
	s_and_b32 s8, ttmp6, 15
	s_add_co_i32 s7, s7, 1
	s_getreg_b32 s9, hwreg(HW_REG_IB_STS2, 6, 4)
	s_mul_i32 s7, ttmp9, s7
	v_lshrrev_b32_e32 v1, 6, v0
	s_add_co_i32 s8, s8, s7
	s_cmp_eq_u32 s9, 0
	s_cselect_b32 s7, ttmp9, s8
	s_delay_alu instid0(SALU_CYCLE_1) | instskip(NEXT) | instid1(SALU_CYCLE_1)
	s_lshl_b32 s7, s7, 2
	v_and_or_b32 v7, 0x3fffffc, s7, v1
	s_mov_b32 s7, exec_lo
	s_wait_kmcnt 0x0
	s_delay_alu instid0(VALU_DEP_1)
	v_cmpx_gt_i32_e64 s25, v7
	s_cbranch_execz .LBB17_40
; %bb.6:
	s_clause 0x2
	s_load_b128 s[8:11], s[0:1], 0x18
	s_load_b128 s[12:15], s[0:1], 0x38
	s_load_b64 s[16:17], s[0:1], 0x50
	v_lshlrev_b32_e32 v8, 2, v7
	s_wait_kmcnt 0x0
	s_clause 0x1
	global_load_b64 v[2:3], v8, s[8:9]
	global_load_b64 v[4:5], v8, s[12:13]
	global_load_b32 v6, v7, s[16:17] scale_offset
	s_wait_loadcnt 0x2
	s_wait_xcnt 0x0
	v_subrev_nc_u32_e32 v7, s4, v2
	v_cmp_lt_i32_e32 vcc_lo, v2, v3
	v_mov_b32_e32 v2, s26
	s_and_saveexec_b32 s7, vcc_lo
	s_cbranch_execz .LBB17_8
; %bb.7:
	global_load_b32 v2, v7, s[10:11] scale_offset
	s_wait_loadcnt 0x0
	v_subrev_nc_u32_e32 v2, s4, v2
.LBB17_8:
	s_or_b32 exec_lo, exec_lo, s7
	s_clause 0x2
	s_load_b128 s[16:19], s[0:1], 0x58
	s_load_b64 s[8:9], s[0:1], 0x28
	s_load_b64 s[12:13], s[0:1], 0x48
	s_wait_loadcnt 0x1
	v_subrev_nc_u32_e32 v8, s5, v4
	v_cmp_lt_i32_e32 vcc_lo, v4, v5
	v_mov_b32_e32 v4, s26
	s_wait_xcnt 0x0
	s_and_saveexec_b32 s0, vcc_lo
	s_cbranch_execz .LBB17_10
; %bb.9:
	global_load_b32 v4, v8, s[14:15] scale_offset
	s_wait_loadcnt 0x0
	v_subrev_nc_u32_e32 v4, s5, v4
.LBB17_10:
	s_or_b32 exec_lo, exec_lo, s0
	v_dual_lshlrev_b32 v12, 11, v1 :: v_dual_bitop2_b32 v1, 63, v0 bitop3:0x40
	s_delay_alu instid0(VALU_DEP_2)
	v_min_i32_e32 v20, v4, v2
	v_mbcnt_lo_u32_b32 v2, -1, 0
	v_subrev_nc_u32_e32 v14, s4, v3
	s_movk_i32 s0, 0xc0
	v_add_nc_u32_e32 v18, v8, v1
	v_and_or_b32 v13, v0, s0, 0x2000
	v_or_b32_e32 v3, 32, v2
	v_bitop3_b32 v0, v0, 63, v0 bitop3:0xc
	v_subrev_nc_u32_e32 v15, s5, v5
	s_wait_loadcnt 0x0
	v_subrev_nc_u32_e32 v16, s6, v6
	s_mov_b32 s20, 0
	v_cmp_gt_i32_e32 vcc_lo, 32, v3
	v_lshrrev_b64 v[8:9], v0, -1
	v_xor_b32_e32 v4, 16, v2
	s_mov_b32 s21, s20
	s_mov_b32 s22, s20
	v_dual_cndmask_b32 v3, v2, v3, vcc_lo :: v_dual_add_nc_u32 v9, s6, v1
	s_delay_alu instid0(VALU_DEP_2) | instskip(SKIP_2) | instid1(VALU_DEP_3)
	v_cmp_gt_i32_e32 vcc_lo, 32, v4
	v_xor_b32_e32 v0, 8, v2
	s_mov_b32 s23, s20
	v_dual_lshlrev_b32 v21, 2, v3 :: v_dual_add_nc_u32 v17, v7, v1
	v_cndmask_b32_e32 v3, v2, v4, vcc_lo
	s_delay_alu instid0(VALU_DEP_3) | instskip(SKIP_4) | instid1(VALU_DEP_4)
	v_cmp_gt_i32_e32 vcc_lo, 32, v0
	v_xor_b32_e32 v4, 4, v2
	v_lshl_or_b32 v19, v1, 5, v12
	v_dual_add_nc_u32 v27, v13, v1 :: v_dual_mov_b32 v11, 0
	v_cndmask_b32_e32 v0, v2, v0, vcc_lo
	v_cmp_gt_i32_e32 vcc_lo, 32, v4
	v_xor_b32_e32 v5, 2, v2
	s_cmp_lg_u32 s24, 0
	v_mov_b32_e32 v28, 1
	s_cselect_b32 s1, -1, 0
	v_cndmask_b32_e32 v4, v2, v4, vcc_lo
	v_cmp_gt_i32_e32 vcc_lo, 32, v5
	v_xor_b32_e32 v6, 1, v2
	s_xor_b32 s30, s3, 0x80000000
	s_xor_b32 s34, s29, 0x80000000
	s_cmp_eq_u32 s24, 0
	v_cndmask_b32_e32 v5, v2, v5, vcc_lo
	v_cmp_gt_i32_e32 vcc_lo, 32, v6
	v_dual_lshlrev_b32 v22, 2, v3 :: v_dual_lshlrev_b32 v23, 2, v0
	s_cselect_b32 s6, 8, 16
	s_delay_alu instid0(VALU_DEP_3)
	v_dual_cndmask_b32 v2, v2, v6 :: v_dual_lshlrev_b32 v25, 2, v5
	v_lshlrev_b32_e32 v24, 2, v4
	s_cselect_b32 s7, 16, 8
	s_mov_b32 s31, s2
	s_mov_b32 s35, s28
	v_lshlrev_b32_e32 v26, 2, v2
	v_mov_b64_e32 v[0:1], s[20:21]
	v_mov_b64_e32 v[2:3], s[22:23]
	s_branch .LBB17_12
.LBB17_11:                              ;   in Loop: Header=BB17_12 Depth=1
	s_wait_xcnt 0x0
	s_or_b32 exec_lo, exec_lo, s21
	ds_bpermute_b32 v4, v21, v29
	s_bcnt1_i32_b32 s21, vcc_lo
	s_wait_dscnt 0x0
	v_dual_add_nc_u32 v16, s21, v16 :: v_dual_min_i32 v4, v4, v29
	ds_bpermute_b32 v5, v22, v4
	s_wait_dscnt 0x0
	v_min_i32_e32 v4, v5, v4
	ds_bpermute_b32 v5, v23, v4
	s_wait_dscnt 0x0
	v_min_i32_e32 v4, v5, v4
	;; [unrolled: 3-line block ×5, first 2 shown]
	s_delay_alu instid0(VALU_DEP_1) | instskip(SKIP_1) | instid1(SALU_CYCLE_1)
	v_cmp_le_i32_e64 s0, s26, v20
	s_or_b32 s20, s0, s20
	s_and_not1_b32 exec_lo, exec_lo, s20
	s_cbranch_execz .LBB17_40
.LBB17_12:                              ; =>This Loop Header: Depth=1
                                        ;     Child Loop BB17_15 Depth 2
                                        ;     Child Loop BB17_28 Depth 2
	v_mov_b32_e32 v29, s26
	s_mov_b32 s21, exec_lo
	ds_store_b8 v27, v11
	ds_store_b128 v19, v[0:3]
	ds_store_b128 v19, v[0:3] offset:16
	s_wait_dscnt 0x0
	v_cmpx_lt_i32_e64 v17, v14
	s_cbranch_execz .LBB17_25
; %bb.13:                               ;   in Loop: Header=BB17_12 Depth=1
	v_dual_mov_b32 v29, s26 :: v_dual_lshlrev_b32 v10, 2, v17
	s_mov_b32 s22, 0
	s_branch .LBB17_15
.LBB17_14:                              ;   in Loop: Header=BB17_15 Depth=2
	s_or_b32 exec_lo, exec_lo, s24
	s_delay_alu instid0(SALU_CYCLE_1) | instskip(NEXT) | instid1(SALU_CYCLE_1)
	s_and_b32 s0, exec_lo, s23
	s_or_b32 s22, s0, s22
	s_delay_alu instid0(SALU_CYCLE_1)
	s_and_not1_b32 exec_lo, exec_lo, s22
	s_cbranch_execz .LBB17_24
.LBB17_15:                              ;   Parent Loop BB17_12 Depth=1
                                        ; =>  This Inner Loop Header: Depth=2
	global_load_b32 v4, v17, s[10:11] scale_offset
	s_mov_b32 s23, exec_lo
	s_wait_loadcnt 0x0
	v_subrev_nc_u32_e32 v5, s4, v4
	s_delay_alu instid0(VALU_DEP_1) | instskip(NEXT) | instid1(VALU_DEP_1)
	v_sub_nc_u32_e32 v4, v5, v20
	v_cmp_gt_u32_e64 s0, 64, v4
	s_wait_xcnt 0x0
	v_cmpx_lt_u32_e32 63, v4
	s_xor_b32 s23, exec_lo, s23
; %bb.16:                               ;   in Loop: Header=BB17_15 Depth=2
	v_min_i32_e32 v29, v5, v29
                                        ; implicit-def: $vgpr4
; %bb.17:                               ;   in Loop: Header=BB17_15 Depth=2
	s_and_not1_saveexec_b32 s23, s23
	s_cbranch_execz .LBB17_22
; %bb.18:                               ;   in Loop: Header=BB17_15 Depth=2
	s_wait_kmcnt 0x0
	global_load_b64 v[30:31], v10, s[8:9] scale_offset
	v_mov_b64_e32 v[6:7], s[30:31]
	v_mov_b64_e32 v[34:35], s[2:3]
	v_lshlrev_b32_e32 v5, 5, v4
	s_mov_b32 s24, -1
	s_and_not1_b32 vcc_lo, exec_lo, s1
	s_wait_loadcnt 0x0
	s_delay_alu instid0(VALU_DEP_3) | instskip(SKIP_2) | instid1(VALU_DEP_3)
	v_pk_mul_f32 v[32:33], v[30:31], v[6:7] op_sel:[1,0]
	v_dual_add_nc_u32 v7, v13, v4 :: v_dual_add_nc_u32 v6, v12, v5
	v_lshl_add_u64 v[4:5], v[10:11], 3, s[8:9]
	v_pk_fma_f32 v[30:31], v[34:35], v[30:31], v[32:33] op_sel_hi:[1,0,1]
	ds_store_b8 v7, v28
	ds_store_b64 v6, v[30:31]
	s_cbranch_vccnz .LBB17_20
; %bb.19:                               ;   in Loop: Header=BB17_15 Depth=2
	s_clause 0x1
	global_load_b128 v[30:33], v[4:5], off offset:8
	global_load_b64 v[34:35], v[4:5], off offset:24
	v_mov_b64_e32 v[36:37], s[30:31]
	v_mov_b64_e32 v[40:41], s[2:3]
	s_mov_b32 s24, 0
	s_wait_loadcnt 0x1
	v_mov_b32_e32 v38, v33
	s_delay_alu instid0(VALU_DEP_3) | instskip(NEXT) | instid1(VALU_DEP_2)
	v_pk_mul_f32 v[42:43], v[30:31], v[36:37] op_sel:[1,0]
	v_pk_mul_f32 v[38:39], v[38:39], v[36:37] op_sel_hi:[0,1]
	s_wait_loadcnt 0x0
	v_pk_mul_f32 v[36:37], v[34:35], v[36:37] op_sel:[1,0]
	s_delay_alu instid0(VALU_DEP_3) | instskip(NEXT) | instid1(VALU_DEP_3)
	v_pk_fma_f32 v[30:31], v[40:41], v[30:31], v[42:43] op_sel_hi:[1,0,1]
	v_pk_fma_f32 v[32:33], v[40:41], v[32:33], v[38:39] op_sel_hi:[1,0,1]
	s_delay_alu instid0(VALU_DEP_3)
	v_pk_fma_f32 v[34:35], v[40:41], v[34:35], v[36:37] op_sel_hi:[1,0,1]
	ds_store_2addr_b64 v6, v[32:33], v[30:31] offset0:1 offset1:2
	ds_store_b64 v6, v[34:35] offset:24
.LBB17_20:                              ;   in Loop: Header=BB17_15 Depth=2
	s_and_not1_b32 vcc_lo, exec_lo, s24
	s_cbranch_vccnz .LBB17_22
; %bb.21:                               ;   in Loop: Header=BB17_15 Depth=2
	s_clause 0x1
	global_load_b128 v[30:33], v[4:5], off offset:8
	global_load_b64 v[34:35], v[4:5], off offset:24
	s_wait_xcnt 0x0
	v_mov_b64_e32 v[4:5], s[30:31]
	v_mov_b64_e32 v[38:39], s[2:3]
	s_wait_loadcnt 0x1
	v_mov_b32_e32 v36, v33
	s_delay_alu instid0(VALU_DEP_3) | instskip(NEXT) | instid1(VALU_DEP_2)
	v_pk_mul_f32 v[40:41], v[30:31], v[4:5] op_sel:[1,0]
	v_pk_mul_f32 v[36:37], v[36:37], v[4:5] op_sel_hi:[0,1]
	s_wait_loadcnt 0x0
	v_pk_mul_f32 v[4:5], v[34:35], v[4:5] op_sel:[1,0]
	s_delay_alu instid0(VALU_DEP_3) | instskip(NEXT) | instid1(VALU_DEP_3)
	v_pk_fma_f32 v[30:31], v[38:39], v[30:31], v[40:41] op_sel_hi:[1,0,1]
	v_pk_fma_f32 v[32:33], v[38:39], v[32:33], v[36:37] op_sel_hi:[1,0,1]
	s_delay_alu instid0(VALU_DEP_3)
	v_pk_fma_f32 v[4:5], v[38:39], v[34:35], v[4:5] op_sel_hi:[1,0,1]
	ds_store_2addr_b64 v6, v[30:31], v[32:33] offset0:1 offset1:2
	ds_store_b64 v6, v[4:5] offset:24
.LBB17_22:                              ;   in Loop: Header=BB17_15 Depth=2
	s_wait_xcnt 0x0
	s_or_b32 exec_lo, exec_lo, s23
	s_mov_b32 s23, -1
	s_and_saveexec_b32 s24, s0
	s_cbranch_execz .LBB17_14
; %bb.23:                               ;   in Loop: Header=BB17_15 Depth=2
	v_add_nc_u32_e32 v17, 64, v17
	v_add_nc_u32_e32 v10, 0x100, v10
	s_delay_alu instid0(VALU_DEP_2)
	v_cmp_ge_i32_e32 vcc_lo, v17, v14
	s_or_not1_b32 s23, vcc_lo, exec_lo
	s_branch .LBB17_14
.LBB17_24:                              ;   in Loop: Header=BB17_12 Depth=1
	s_or_b32 exec_lo, exec_lo, s22
.LBB17_25:                              ;   in Loop: Header=BB17_12 Depth=1
	s_delay_alu instid0(SALU_CYCLE_1) | instskip(NEXT) | instid1(SALU_CYCLE_1)
	s_or_b32 exec_lo, exec_lo, s21
	s_mov_b32 s21, exec_lo
	s_wait_dscnt 0x0
	v_cmpx_lt_i32_e64 v18, v15
	s_cbranch_execz .LBB17_38
; %bb.26:                               ;   in Loop: Header=BB17_12 Depth=1
	v_lshlrev_b32_e32 v10, 2, v18
	s_mov_b32 s22, 0
	s_branch .LBB17_28
.LBB17_27:                              ;   in Loop: Header=BB17_28 Depth=2
	s_or_b32 exec_lo, exec_lo, s24
	s_delay_alu instid0(SALU_CYCLE_1) | instskip(NEXT) | instid1(SALU_CYCLE_1)
	s_and_b32 s0, exec_lo, s23
	s_or_b32 s22, s0, s22
	s_delay_alu instid0(SALU_CYCLE_1)
	s_and_not1_b32 exec_lo, exec_lo, s22
	s_cbranch_execz .LBB17_37
.LBB17_28:                              ;   Parent Loop BB17_12 Depth=1
                                        ; =>  This Inner Loop Header: Depth=2
	global_load_b32 v4, v18, s[14:15] scale_offset
	s_mov_b32 s23, exec_lo
	s_wait_loadcnt 0x0
	v_subrev_nc_u32_e32 v4, s5, v4
	s_delay_alu instid0(VALU_DEP_1) | instskip(NEXT) | instid1(VALU_DEP_1)
	v_sub_nc_u32_e32 v31, v4, v20
	v_cmp_gt_u32_e64 s0, 64, v31
	s_wait_xcnt 0x0
	v_cmpx_lt_u32_e32 63, v31
	s_xor_b32 s23, exec_lo, s23
; %bb.29:                               ;   in Loop: Header=BB17_28 Depth=2
	v_min_i32_e32 v29, v4, v29
                                        ; implicit-def: $vgpr31
; %bb.30:                               ;   in Loop: Header=BB17_28 Depth=2
	s_and_not1_saveexec_b32 s23, s23
	s_cbranch_execz .LBB17_35
; %bb.31:                               ;   in Loop: Header=BB17_28 Depth=2
	s_wait_kmcnt 0x0
	global_load_b64 v[32:33], v10, s[12:13] scale_offset
	v_dual_lshlrev_b32 v4, 5, v31 :: v_dual_add_nc_u32 v31, v13, v31
	v_mov_b64_e32 v[34:35], s[28:29]
	s_mov_b32 s24, -1
	s_and_not1_b32 vcc_lo, exec_lo, s1
	s_delay_alu instid0(VALU_DEP_2) | instskip(SKIP_4) | instid1(VALU_DEP_1)
	v_add_nc_u32_e32 v30, v12, v4
	ds_load_b128 v[4:7], v30
	s_wait_loadcnt_dscnt 0x0
	v_pk_fma_f32 v[4:5], v[34:35], v[32:33], v[4:5] op_sel_hi:[1,0,1]
	v_mov_b64_e32 v[34:35], s[34:35]
	v_pk_fma_f32 v[32:33], v[34:35], v[32:33], v[4:5] op_sel:[0,1,0]
	v_lshl_add_u64 v[4:5], v[10:11], 3, s[12:13]
	ds_store_b8 v31, v28
	ds_store_b64 v30, v[32:33]
	s_cbranch_vccnz .LBB17_33
; %bb.32:                               ;   in Loop: Header=BB17_28 Depth=2
	s_clause 0x1
	global_load_b128 v[32:35], v[4:5], off offset:8
	global_load_b64 v[40:41], v[4:5], off offset:24
	ds_load_b128 v[36:39], v30 offset:16
	v_mov_b64_e32 v[42:43], s[28:29]
	v_mov_b64_e32 v[44:45], s[34:35]
	s_mov_b32 s24, 0
	s_wait_loadcnt 0x1
	s_delay_alu instid0(VALU_DEP_2)
	v_pk_fma_f32 v[46:47], v[42:43], v[34:35], v[6:7] op_sel_hi:[1,0,1]
	v_mov_b32_e32 v34, v35
	s_wait_dscnt 0x0
	v_pk_fma_f32 v[36:37], v[42:43], v[32:33], v[36:37] op_sel_hi:[1,0,1]
	s_wait_loadcnt 0x0
	v_pk_fma_f32 v[38:39], v[42:43], v[40:41], v[38:39] op_sel_hi:[1,0,1]
	v_pk_fma_f32 v[34:35], v[44:45], v[34:35], v[46:47] op_sel_hi:[1,0,1]
	s_delay_alu instid0(VALU_DEP_3) | instskip(NEXT) | instid1(VALU_DEP_3)
	v_pk_fma_f32 v[32:33], v[44:45], v[32:33], v[36:37] op_sel:[0,1,0]
	v_pk_fma_f32 v[36:37], v[44:45], v[40:41], v[38:39] op_sel:[0,1,0]
	ds_store_2addr_b64 v30, v[34:35], v[32:33] offset0:1 offset1:2
	ds_store_b64 v30, v[36:37] offset:24
.LBB17_33:                              ;   in Loop: Header=BB17_28 Depth=2
	s_and_not1_b32 vcc_lo, exec_lo, s24
	s_cbranch_vccnz .LBB17_35
; %bb.34:                               ;   in Loop: Header=BB17_28 Depth=2
	s_clause 0x1
	global_load_b128 v[32:35], v[4:5], off offset:8
	global_load_b64 v[40:41], v[4:5], off offset:24
	ds_load_b128 v[36:39], v30 offset:16
	s_wait_xcnt 0x0
	v_mov_b64_e32 v[4:5], s[28:29]
	v_mov_b64_e32 v[42:43], s[34:35]
	s_wait_loadcnt 0x1
	s_delay_alu instid0(VALU_DEP_2)
	v_pk_fma_f32 v[6:7], v[4:5], v[32:33], v[6:7] op_sel_hi:[1,0,1]
	s_wait_dscnt 0x0
	v_pk_fma_f32 v[36:37], v[4:5], v[34:35], v[36:37] op_sel_hi:[1,0,1]
	v_mov_b32_e32 v34, v35
	s_wait_loadcnt 0x0
	v_pk_fma_f32 v[4:5], v[4:5], v[40:41], v[38:39] op_sel_hi:[1,0,1]
	v_pk_fma_f32 v[6:7], v[42:43], v[32:33], v[6:7] op_sel:[0,1,0]
	s_delay_alu instid0(VALU_DEP_3) | instskip(NEXT) | instid1(VALU_DEP_3)
	v_pk_fma_f32 v[32:33], v[42:43], v[34:35], v[36:37] op_sel_hi:[1,0,1]
	v_pk_fma_f32 v[4:5], v[42:43], v[40:41], v[4:5] op_sel:[0,1,0]
	ds_store_2addr_b64 v30, v[6:7], v[32:33] offset0:1 offset1:2
	ds_store_b64 v30, v[4:5] offset:24
.LBB17_35:                              ;   in Loop: Header=BB17_28 Depth=2
	s_wait_xcnt 0x0
	s_or_b32 exec_lo, exec_lo, s23
	s_mov_b32 s23, -1
	s_and_saveexec_b32 s24, s0
	s_cbranch_execz .LBB17_27
; %bb.36:                               ;   in Loop: Header=BB17_28 Depth=2
	v_add_nc_u32_e32 v18, 64, v18
	v_add_nc_u32_e32 v10, 0x100, v10
	s_delay_alu instid0(VALU_DEP_2)
	v_cmp_ge_i32_e32 vcc_lo, v18, v15
	s_or_not1_b32 s23, vcc_lo, exec_lo
	s_branch .LBB17_27
.LBB17_37:                              ;   in Loop: Header=BB17_12 Depth=1
	s_or_b32 exec_lo, exec_lo, s22
.LBB17_38:                              ;   in Loop: Header=BB17_12 Depth=1
	s_delay_alu instid0(SALU_CYCLE_1)
	s_or_b32 exec_lo, exec_lo, s21
	s_wait_dscnt 0x0
	ds_load_u8 v4, v27
	s_mov_b32 s21, exec_lo
	s_wait_dscnt 0x0
	v_and_b32_e32 v5, 1, v4
	v_cmp_ne_u16_e32 vcc_lo, 0, v4
	s_delay_alu instid0(VALU_DEP_2)
	v_cmpx_eq_u32_e32 1, v5
	s_cbranch_execz .LBB17_11
; %bb.39:                               ;   in Loop: Header=BB17_12 Depth=1
	ds_load_2addr_b64 v[4:7], v19 offset1:3
	v_dual_add_nc_u32 v32, s6, v19 :: v_dual_bitop2_b32 v10, vcc_lo, v8 bitop3:0x40
	v_dual_add_nc_u32 v34, s7, v19 :: v_dual_add_nc_u32 v20, v9, v20
	s_delay_alu instid0(VALU_DEP_2) | instskip(NEXT) | instid1(VALU_DEP_1)
	v_bcnt_u32_b32 v10, v10, 0
	v_add3_u32 v36, v16, v10, -1
	s_wait_dscnt 0x0
	s_delay_alu instid0(VALU_DEP_1)
	v_dual_mov_b32 v31, v5 :: v_dual_lshlrev_b32 v10, 2, v36
	v_mov_b32_e32 v30, v4
	ds_load_b64 v[32:33], v32
	ds_load_b64 v[4:5], v34
	s_wait_kmcnt 0x0
	v_lshl_add_u64 v[34:35], v[10:11], 3, s[18:19]
	global_store_b32 v36, v20, s[16:17] scale_offset
	s_wait_dscnt 0x1
	global_store_b128 v[34:35], v[30:33], off
	s_wait_dscnt 0x0
	global_store_b128 v[34:35], v[4:7], off offset:16
	s_branch .LBB17_11
.LBB17_40:
	s_endpgm
.LBB17_41:
	s_load_b32 s2, s[10:11], 0x0
	v_cndmask_b32_e64 v1, 0, 1, s3
	s_and_not1_b32 vcc_lo, exec_lo, s3
	s_mov_b32 s3, s11
	s_cbranch_vccnz .LBB17_2
.LBB17_42:
	s_load_b32 s3, s[10:11], 0x4
	v_cmp_ne_u32_e32 vcc_lo, 1, v1
	s_mov_b32 s28, s8
	s_cbranch_vccnz .LBB17_3
.LBB17_43:
	s_load_b32 s28, s[8:9], 0x0
	v_cmp_ne_u32_e32 vcc_lo, 1, v1
	s_mov_b32 s29, s9
	s_cbranch_vccz .LBB17_4
	s_branch .LBB17_5
	.section	.rodata,"a",@progbits
	.p2align	6, 0x0
	.amdhsa_kernel _ZN9rocsparseL39bsrgeam_wf_per_row_multipass_2_3_kernelILj256ELj2ELj64E21rocsparse_complex_numIfEEEv20rocsparse_direction_iiiNS_24const_host_device_scalarIT2_EEPKiS8_PKS5_S6_S8_S8_SA_S8_PiPS5_21rocsparse_index_base_SD_SD_b
		.amdhsa_group_segment_fixed_size 8448
		.amdhsa_private_segment_fixed_size 0
		.amdhsa_kernarg_size 120
		.amdhsa_user_sgpr_count 2
		.amdhsa_user_sgpr_dispatch_ptr 0
		.amdhsa_user_sgpr_queue_ptr 0
		.amdhsa_user_sgpr_kernarg_segment_ptr 1
		.amdhsa_user_sgpr_dispatch_id 0
		.amdhsa_user_sgpr_kernarg_preload_length 0
		.amdhsa_user_sgpr_kernarg_preload_offset 0
		.amdhsa_user_sgpr_private_segment_size 0
		.amdhsa_wavefront_size32 1
		.amdhsa_uses_dynamic_stack 0
		.amdhsa_enable_private_segment 0
		.amdhsa_system_sgpr_workgroup_id_x 1
		.amdhsa_system_sgpr_workgroup_id_y 0
		.amdhsa_system_sgpr_workgroup_id_z 0
		.amdhsa_system_sgpr_workgroup_info 0
		.amdhsa_system_vgpr_workitem_id 0
		.amdhsa_next_free_vgpr 48
		.amdhsa_next_free_sgpr 36
		.amdhsa_named_barrier_count 0
		.amdhsa_reserve_vcc 1
		.amdhsa_float_round_mode_32 0
		.amdhsa_float_round_mode_16_64 0
		.amdhsa_float_denorm_mode_32 3
		.amdhsa_float_denorm_mode_16_64 3
		.amdhsa_fp16_overflow 0
		.amdhsa_memory_ordered 1
		.amdhsa_forward_progress 1
		.amdhsa_inst_pref_size 18
		.amdhsa_round_robin_scheduling 0
		.amdhsa_exception_fp_ieee_invalid_op 0
		.amdhsa_exception_fp_denorm_src 0
		.amdhsa_exception_fp_ieee_div_zero 0
		.amdhsa_exception_fp_ieee_overflow 0
		.amdhsa_exception_fp_ieee_underflow 0
		.amdhsa_exception_fp_ieee_inexact 0
		.amdhsa_exception_int_div_zero 0
	.end_amdhsa_kernel
	.section	.text._ZN9rocsparseL39bsrgeam_wf_per_row_multipass_2_3_kernelILj256ELj2ELj64E21rocsparse_complex_numIfEEEv20rocsparse_direction_iiiNS_24const_host_device_scalarIT2_EEPKiS8_PKS5_S6_S8_S8_SA_S8_PiPS5_21rocsparse_index_base_SD_SD_b,"axG",@progbits,_ZN9rocsparseL39bsrgeam_wf_per_row_multipass_2_3_kernelILj256ELj2ELj64E21rocsparse_complex_numIfEEEv20rocsparse_direction_iiiNS_24const_host_device_scalarIT2_EEPKiS8_PKS5_S6_S8_S8_SA_S8_PiPS5_21rocsparse_index_base_SD_SD_b,comdat
.Lfunc_end17:
	.size	_ZN9rocsparseL39bsrgeam_wf_per_row_multipass_2_3_kernelILj256ELj2ELj64E21rocsparse_complex_numIfEEEv20rocsparse_direction_iiiNS_24const_host_device_scalarIT2_EEPKiS8_PKS5_S6_S8_S8_SA_S8_PiPS5_21rocsparse_index_base_SD_SD_b, .Lfunc_end17-_ZN9rocsparseL39bsrgeam_wf_per_row_multipass_2_3_kernelILj256ELj2ELj64E21rocsparse_complex_numIfEEEv20rocsparse_direction_iiiNS_24const_host_device_scalarIT2_EEPKiS8_PKS5_S6_S8_S8_SA_S8_PiPS5_21rocsparse_index_base_SD_SD_b
                                        ; -- End function
	.set _ZN9rocsparseL39bsrgeam_wf_per_row_multipass_2_3_kernelILj256ELj2ELj64E21rocsparse_complex_numIfEEEv20rocsparse_direction_iiiNS_24const_host_device_scalarIT2_EEPKiS8_PKS5_S6_S8_S8_SA_S8_PiPS5_21rocsparse_index_base_SD_SD_b.num_vgpr, 48
	.set _ZN9rocsparseL39bsrgeam_wf_per_row_multipass_2_3_kernelILj256ELj2ELj64E21rocsparse_complex_numIfEEEv20rocsparse_direction_iiiNS_24const_host_device_scalarIT2_EEPKiS8_PKS5_S6_S8_S8_SA_S8_PiPS5_21rocsparse_index_base_SD_SD_b.num_agpr, 0
	.set _ZN9rocsparseL39bsrgeam_wf_per_row_multipass_2_3_kernelILj256ELj2ELj64E21rocsparse_complex_numIfEEEv20rocsparse_direction_iiiNS_24const_host_device_scalarIT2_EEPKiS8_PKS5_S6_S8_S8_SA_S8_PiPS5_21rocsparse_index_base_SD_SD_b.numbered_sgpr, 36
	.set _ZN9rocsparseL39bsrgeam_wf_per_row_multipass_2_3_kernelILj256ELj2ELj64E21rocsparse_complex_numIfEEEv20rocsparse_direction_iiiNS_24const_host_device_scalarIT2_EEPKiS8_PKS5_S6_S8_S8_SA_S8_PiPS5_21rocsparse_index_base_SD_SD_b.num_named_barrier, 0
	.set _ZN9rocsparseL39bsrgeam_wf_per_row_multipass_2_3_kernelILj256ELj2ELj64E21rocsparse_complex_numIfEEEv20rocsparse_direction_iiiNS_24const_host_device_scalarIT2_EEPKiS8_PKS5_S6_S8_S8_SA_S8_PiPS5_21rocsparse_index_base_SD_SD_b.private_seg_size, 0
	.set _ZN9rocsparseL39bsrgeam_wf_per_row_multipass_2_3_kernelILj256ELj2ELj64E21rocsparse_complex_numIfEEEv20rocsparse_direction_iiiNS_24const_host_device_scalarIT2_EEPKiS8_PKS5_S6_S8_S8_SA_S8_PiPS5_21rocsparse_index_base_SD_SD_b.uses_vcc, 1
	.set _ZN9rocsparseL39bsrgeam_wf_per_row_multipass_2_3_kernelILj256ELj2ELj64E21rocsparse_complex_numIfEEEv20rocsparse_direction_iiiNS_24const_host_device_scalarIT2_EEPKiS8_PKS5_S6_S8_S8_SA_S8_PiPS5_21rocsparse_index_base_SD_SD_b.uses_flat_scratch, 0
	.set _ZN9rocsparseL39bsrgeam_wf_per_row_multipass_2_3_kernelILj256ELj2ELj64E21rocsparse_complex_numIfEEEv20rocsparse_direction_iiiNS_24const_host_device_scalarIT2_EEPKiS8_PKS5_S6_S8_S8_SA_S8_PiPS5_21rocsparse_index_base_SD_SD_b.has_dyn_sized_stack, 0
	.set _ZN9rocsparseL39bsrgeam_wf_per_row_multipass_2_3_kernelILj256ELj2ELj64E21rocsparse_complex_numIfEEEv20rocsparse_direction_iiiNS_24const_host_device_scalarIT2_EEPKiS8_PKS5_S6_S8_S8_SA_S8_PiPS5_21rocsparse_index_base_SD_SD_b.has_recursion, 0
	.set _ZN9rocsparseL39bsrgeam_wf_per_row_multipass_2_3_kernelILj256ELj2ELj64E21rocsparse_complex_numIfEEEv20rocsparse_direction_iiiNS_24const_host_device_scalarIT2_EEPKiS8_PKS5_S6_S8_S8_SA_S8_PiPS5_21rocsparse_index_base_SD_SD_b.has_indirect_call, 0
	.section	.AMDGPU.csdata,"",@progbits
; Kernel info:
; codeLenInByte = 2280
; TotalNumSgprs: 38
; NumVgprs: 48
; ScratchSize: 0
; MemoryBound: 0
; FloatMode: 240
; IeeeMode: 1
; LDSByteSize: 8448 bytes/workgroup (compile time only)
; SGPRBlocks: 0
; VGPRBlocks: 2
; NumSGPRsForWavesPerEU: 38
; NumVGPRsForWavesPerEU: 48
; NamedBarCnt: 0
; Occupancy: 16
; WaveLimiterHint : 1
; COMPUTE_PGM_RSRC2:SCRATCH_EN: 0
; COMPUTE_PGM_RSRC2:USER_SGPR: 2
; COMPUTE_PGM_RSRC2:TRAP_HANDLER: 0
; COMPUTE_PGM_RSRC2:TGID_X_EN: 1
; COMPUTE_PGM_RSRC2:TGID_Y_EN: 0
; COMPUTE_PGM_RSRC2:TGID_Z_EN: 0
; COMPUTE_PGM_RSRC2:TIDIG_COMP_CNT: 0
	.section	.text._ZN9rocsparseL39bsrgeam_wf_per_row_multipass_2_3_kernelILj256ELj3ELj32E21rocsparse_complex_numIfEEEv20rocsparse_direction_iiiNS_24const_host_device_scalarIT2_EEPKiS8_PKS5_S6_S8_S8_SA_S8_PiPS5_21rocsparse_index_base_SD_SD_b,"axG",@progbits,_ZN9rocsparseL39bsrgeam_wf_per_row_multipass_2_3_kernelILj256ELj3ELj32E21rocsparse_complex_numIfEEEv20rocsparse_direction_iiiNS_24const_host_device_scalarIT2_EEPKiS8_PKS5_S6_S8_S8_SA_S8_PiPS5_21rocsparse_index_base_SD_SD_b,comdat
	.globl	_ZN9rocsparseL39bsrgeam_wf_per_row_multipass_2_3_kernelILj256ELj3ELj32E21rocsparse_complex_numIfEEEv20rocsparse_direction_iiiNS_24const_host_device_scalarIT2_EEPKiS8_PKS5_S6_S8_S8_SA_S8_PiPS5_21rocsparse_index_base_SD_SD_b ; -- Begin function _ZN9rocsparseL39bsrgeam_wf_per_row_multipass_2_3_kernelILj256ELj3ELj32E21rocsparse_complex_numIfEEEv20rocsparse_direction_iiiNS_24const_host_device_scalarIT2_EEPKiS8_PKS5_S6_S8_S8_SA_S8_PiPS5_21rocsparse_index_base_SD_SD_b
	.p2align	8
	.type	_ZN9rocsparseL39bsrgeam_wf_per_row_multipass_2_3_kernelILj256ELj3ELj32E21rocsparse_complex_numIfEEEv20rocsparse_direction_iiiNS_24const_host_device_scalarIT2_EEPKiS8_PKS5_S6_S8_S8_SA_S8_PiPS5_21rocsparse_index_base_SD_SD_b,@function
_ZN9rocsparseL39bsrgeam_wf_per_row_multipass_2_3_kernelILj256ELj3ELj32E21rocsparse_complex_numIfEEEv20rocsparse_direction_iiiNS_24const_host_device_scalarIT2_EEPKiS8_PKS5_S6_S8_S8_SA_S8_PiPS5_21rocsparse_index_base_SD_SD_b: ; @_ZN9rocsparseL39bsrgeam_wf_per_row_multipass_2_3_kernelILj256ELj3ELj32E21rocsparse_complex_numIfEEEv20rocsparse_direction_iiiNS_24const_host_device_scalarIT2_EEPKiS8_PKS5_S6_S8_S8_SA_S8_PiPS5_21rocsparse_index_base_SD_SD_b
; %bb.0:
	s_clause 0x2
	s_load_b128 s[4:7], s[0:1], 0x68
	s_load_b64 s[10:11], s[0:1], 0x10
	s_load_b64 s[8:9], s[0:1], 0x30
	s_wait_kmcnt 0x0
	s_bitcmp1_b32 s7, 0
	s_cselect_b32 s2, -1, 0
	s_delay_alu instid0(SALU_CYCLE_1)
	s_xor_b32 s3, s2, -1
	s_and_b32 vcc_lo, exec_lo, s2
	s_mov_b32 s2, s10
	s_cbranch_vccz .LBB18_41
; %bb.1:
	v_cndmask_b32_e64 v1, 0, 1, s3
	s_and_not1_b32 vcc_lo, exec_lo, s3
	s_mov_b32 s3, s11
	s_cbranch_vccz .LBB18_42
.LBB18_2:
	s_delay_alu instid0(VALU_DEP_1)
	v_cmp_ne_u32_e32 vcc_lo, 1, v1
	s_mov_b32 s24, s8
	s_cbranch_vccz .LBB18_43
.LBB18_3:
	v_cmp_ne_u32_e32 vcc_lo, 1, v1
	s_mov_b32 s25, s9
	s_cbranch_vccnz .LBB18_5
.LBB18_4:
	s_load_b32 s25, s[8:9], 0x4
.LBB18_5:
	s_load_b96 s[20:22], s[0:1], 0x0
	s_bfe_u32 s7, ttmp6, 0x4000c
	s_wait_xcnt 0x0
	s_and_b32 s8, ttmp6, 15
	s_add_co_i32 s7, s7, 1
	s_getreg_b32 s9, hwreg(HW_REG_IB_STS2, 6, 4)
	s_mul_i32 s7, ttmp9, s7
	v_lshrrev_b32_e32 v1, 5, v0
	s_add_co_i32 s8, s8, s7
	s_cmp_eq_u32 s9, 0
	s_cselect_b32 s7, ttmp9, s8
	s_delay_alu instid0(SALU_CYCLE_1) | instskip(NEXT) | instid1(SALU_CYCLE_1)
	s_lshl_b32 s7, s7, 3
	v_and_or_b32 v7, 0x7fffff8, s7, v1
	s_mov_b32 s7, exec_lo
	s_wait_kmcnt 0x0
	s_delay_alu instid0(VALU_DEP_1)
	v_cmpx_gt_i32_e64 s21, v7
	s_cbranch_execz .LBB18_40
; %bb.6:
	s_clause 0x2
	s_load_b128 s[8:11], s[0:1], 0x18
	s_load_b128 s[12:15], s[0:1], 0x38
	s_load_b64 s[16:17], s[0:1], 0x50
	v_lshlrev_b32_e32 v8, 2, v7
	s_wait_kmcnt 0x0
	s_clause 0x1
	global_load_b64 v[2:3], v8, s[8:9]
	global_load_b64 v[4:5], v8, s[12:13]
	global_load_b32 v6, v7, s[16:17] scale_offset
	s_wait_loadcnt 0x2
	s_wait_xcnt 0x0
	v_subrev_nc_u32_e32 v7, s4, v2
	v_cmp_lt_i32_e32 vcc_lo, v2, v3
	v_mov_b32_e32 v2, s22
	s_and_saveexec_b32 s7, vcc_lo
	s_cbranch_execz .LBB18_8
; %bb.7:
	global_load_b32 v2, v7, s[10:11] scale_offset
	s_wait_loadcnt 0x0
	v_subrev_nc_u32_e32 v2, s4, v2
.LBB18_8:
	s_or_b32 exec_lo, exec_lo, s7
	s_clause 0x2
	s_load_b128 s[16:19], s[0:1], 0x58
	s_load_b64 s[8:9], s[0:1], 0x28
	s_load_b64 s[12:13], s[0:1], 0x48
	s_wait_loadcnt 0x1
	v_subrev_nc_u32_e32 v8, s5, v4
	v_cmp_lt_i32_e32 vcc_lo, v4, v5
	v_mov_b32_e32 v4, s22
	s_wait_xcnt 0x0
	s_and_saveexec_b32 s0, vcc_lo
	s_cbranch_execz .LBB18_10
; %bb.9:
	global_load_b32 v4, v8, s[14:15] scale_offset
	s_wait_loadcnt 0x0
	v_subrev_nc_u32_e32 v4, s5, v4
.LBB18_10:
	s_or_b32 exec_lo, exec_lo, s0
	v_and_b32_e32 v9, 31, v0
	v_subrev_nc_u32_e32 v12, s4, v3
	s_movk_i32 s0, 0xe0
	v_mul_u32_u24_e32 v11, 0x900, v1
	v_and_or_b32 v10, v0, s0, 0x4800
	v_mul_u32_u24_e32 v3, 0x48, v9
	v_bitop3_b32 v0, v0, 31, v0 bitop3:0xc
	v_min_i32_e32 v27, v4, v2
	v_subrev_nc_u32_e32 v13, s5, v5
	s_mov_b32 s26, 0
	v_mad_u32_u24 v17, 0x900, v1, v3
	v_mbcnt_lo_u32_b32 v1, -1, 0
	v_lshrrev_b32_e64 v18, v0, -1
	s_mov_b32 s27, s26
	s_mov_b32 s34, s26
	;; [unrolled: 1-line block ×3, first 2 shown]
	v_xor_b32_e32 v4, 2, v1
	v_xor_b32_e32 v3, 4, v1
	;; [unrolled: 1-line block ×4, first 2 shown]
	s_wait_loadcnt 0x0
	v_subrev_nc_u32_e32 v14, s6, v6
	s_cmp_lg_u32 s20, 0
	v_mov_b32_e32 v28, 1
	s_cselect_b32 s1, -1, 0
	v_cmp_gt_i32_e32 vcc_lo, 32, v2
	s_xor_b32 s28, s3, 0x80000000
	s_xor_b32 s30, s25, 0x80000000
	v_mov_b32_e32 v26, 0
	s_cmp_eq_u32 s20, 0
	v_cndmask_b32_e32 v2, v1, v2, vcc_lo
	v_cmp_gt_i32_e32 vcc_lo, 32, v0
	v_dual_add_nc_u32 v15, v7, v9 :: v_dual_add_nc_u32 v16, v8, v9
	s_delay_alu instid0(VALU_DEP_3)
	v_dual_add_nc_u32 v19, s6, v9 :: v_dual_lshlrev_b32 v20, 2, v2
	v_cndmask_b32_e32 v0, v1, v0, vcc_lo
	v_cmp_gt_i32_e32 vcc_lo, 32, v3
	v_xor_b32_e32 v5, 1, v1
	v_add_nc_u32_e32 v25, v10, v9
	v_mov_b64_e32 v[6:7], s[34:35]
	v_dual_lshlrev_b32 v21, 2, v0 :: v_dual_cndmask_b32 v3, v1, v3, vcc_lo
	v_cmp_gt_i32_e32 vcc_lo, 32, v4
	v_mov_b64_e32 v[8:9], 0
	s_cselect_b32 s6, 8, 24
	s_cselect_b32 s7, 16, 48
	v_dual_lshlrev_b32 v22, 2, v3 :: v_dual_cndmask_b32 v4, v1, v4, vcc_lo
	v_cmp_gt_i32_e32 vcc_lo, 32, v5
	s_cselect_b32 s20, 24, 8
	s_cselect_b32 s21, 40, 56
	;; [unrolled: 1-line block ×3, first 2 shown]
	s_mov_b32 s29, s2
	v_dual_cndmask_b32 v1, v1, v5, vcc_lo :: v_dual_lshlrev_b32 v23, 2, v4
	v_mov_b64_e32 v[4:5], s[26:27]
	s_cselect_b32 s27, 56, 40
	s_mov_b32 s31, s24
	s_delay_alu instid0(VALU_DEP_2)
	v_lshlrev_b32_e32 v24, 2, v1
	s_branch .LBB18_12
.LBB18_11:                              ;   in Loop: Header=BB18_12 Depth=1
	s_wait_xcnt 0x0
	s_or_b32 exec_lo, exec_lo, s33
	ds_bpermute_b32 v0, v20, v29
	s_bcnt1_i32_b32 s33, vcc_lo
	s_wait_dscnt 0x0
	v_dual_add_nc_u32 v14, s33, v14 :: v_dual_min_i32 v0, v0, v29
	ds_bpermute_b32 v1, v21, v0
	s_wait_dscnt 0x0
	v_min_i32_e32 v0, v1, v0
	ds_bpermute_b32 v1, v22, v0
	s_wait_dscnt 0x0
	v_min_i32_e32 v0, v1, v0
	;; [unrolled: 3-line block ×4, first 2 shown]
	s_delay_alu instid0(VALU_DEP_1) | instskip(SKIP_1) | instid1(SALU_CYCLE_1)
	v_cmp_le_i32_e64 s0, s22, v27
	s_or_b32 s26, s0, s26
	s_and_not1_b32 exec_lo, exec_lo, s26
	s_cbranch_execz .LBB18_40
.LBB18_12:                              ; =>This Loop Header: Depth=1
                                        ;     Child Loop BB18_15 Depth 2
                                        ;     Child Loop BB18_28 Depth 2
	v_mov_b32_e32 v29, s22
	s_mov_b32 s33, exec_lo
	ds_store_2addr_b64 v17, v[4:5], v[6:7] offset1:1
	ds_store_2addr_b64 v17, v[4:5], v[6:7] offset0:2 offset1:3
	ds_store_2addr_b64 v17, v[4:5], v[6:7] offset0:4 offset1:5
	ds_store_2addr_b64 v17, v[4:5], v[6:7] offset0:6 offset1:7
	ds_store_b8 v25, v26
	ds_store_b64 v17, v[8:9] offset:64
	s_wait_dscnt 0x0
	v_cmpx_lt_i32_e64 v15, v12
	s_cbranch_execz .LBB18_25
; %bb.13:                               ;   in Loop: Header=BB18_12 Depth=1
	v_mad_u32 v0, v15, 9, 8
	v_mov_b32_e32 v29, s22
	s_mov_b32 s34, 0
	s_branch .LBB18_15
.LBB18_14:                              ;   in Loop: Header=BB18_15 Depth=2
	s_or_b32 exec_lo, exec_lo, s36
	s_delay_alu instid0(SALU_CYCLE_1) | instskip(NEXT) | instid1(SALU_CYCLE_1)
	s_and_b32 s0, exec_lo, s35
	s_or_b32 s34, s0, s34
	s_delay_alu instid0(SALU_CYCLE_1)
	s_and_not1_b32 exec_lo, exec_lo, s34
	s_cbranch_execz .LBB18_24
.LBB18_15:                              ;   Parent Loop BB18_12 Depth=1
                                        ; =>  This Inner Loop Header: Depth=2
	global_load_b32 v1, v15, s[10:11] scale_offset
	s_mov_b32 s35, exec_lo
	s_wait_loadcnt 0x0
	v_subrev_nc_u32_e32 v2, s4, v1
	s_delay_alu instid0(VALU_DEP_1) | instskip(NEXT) | instid1(VALU_DEP_1)
	v_sub_nc_u32_e32 v1, v2, v27
	v_cmp_gt_u32_e64 s0, 32, v1
	s_wait_xcnt 0x0
	v_cmpx_lt_u32_e32 31, v1
	s_xor_b32 s35, exec_lo, s35
; %bb.16:                               ;   in Loop: Header=BB18_15 Depth=2
	v_min_i32_e32 v29, v2, v29
                                        ; implicit-def: $vgpr1
; %bb.17:                               ;   in Loop: Header=BB18_15 Depth=2
	s_and_not1_saveexec_b32 s35, s35
	s_cbranch_execz .LBB18_22
; %bb.18:                               ;   in Loop: Header=BB18_15 Depth=2
	v_dual_add_nc_u32 v2, -8, v0 :: v_dual_add_nc_u32 v41, v10, v1
	v_mov_b64_e32 v[32:33], s[28:29]
	v_mul_lo_u32 v40, 0x48, v1
	v_mov_b64_e32 v[36:37], s[2:3]
	s_wait_kmcnt 0x0
	global_load_b64 v[34:35], v2, s[8:9] scale_offset
	s_wait_xcnt 0x0
	v_dual_add_nc_u32 v2, -5, v0 :: v_dual_add_nc_u32 v31, -2, v0
	v_dual_add_nc_u32 v30, -7, v0 :: v_dual_add_nc_u32 v3, -4, v0
	s_mov_b32 s36, -1
	s_and_not1_b32 vcc_lo, exec_lo, s1
	v_add_nc_u32_e32 v1, v11, v40
	s_wait_loadcnt 0x0
	v_pk_mul_f32 v[38:39], v[34:35], v[32:33] op_sel:[1,0]
	v_dual_add_nc_u32 v32, -1, v0 :: v_dual_add_nc_u32 v33, -6, v0
	s_delay_alu instid0(VALU_DEP_2)
	v_pk_fma_f32 v[36:37], v[36:37], v[34:35], v[38:39] op_sel_hi:[1,0,1]
	v_add_nc_u32_e32 v34, -3, v0
	ds_store_b8 v41, v28
	ds_store_b64 v1, v[36:37]
	s_cbranch_vccnz .LBB18_20
; %bb.19:                               ;   in Loop: Header=BB18_15 Depth=2
	s_clause 0x7
	global_load_b64 v[36:37], v2, s[8:9] scale_offset
	global_load_b64 v[38:39], v31, s[8:9] scale_offset
	;; [unrolled: 1-line block ×8, first 2 shown]
	v_mov_b64_e32 v[52:53], s[28:29]
	v_mov_b64_e32 v[54:55], s[2:3]
	s_mov_b32 s36, 0
	s_wait_loadcnt 0x7
	s_delay_alu instid0(VALU_DEP_2)
	v_pk_mul_f32 v[56:57], v[36:37], v[52:53] op_sel:[1,0]
	s_wait_loadcnt 0x6
	v_pk_mul_f32 v[58:59], v[38:39], v[52:53] op_sel:[1,0]
	s_wait_loadcnt 0x5
	;; [unrolled: 2-line block ×7, first 2 shown]
	v_pk_mul_f32 v[52:53], v[50:51], v[52:53] op_sel:[1,0]
	v_pk_fma_f32 v[36:37], v[54:55], v[36:37], v[56:57] op_sel_hi:[1,0,1]
	v_pk_fma_f32 v[38:39], v[54:55], v[38:39], v[58:59] op_sel_hi:[1,0,1]
	;; [unrolled: 1-line block ×8, first 2 shown]
	ds_store_2addr_b64 v1, v[36:37], v[38:39] offset0:1 offset1:2
	ds_store_2addr_b64 v1, v[40:41], v[42:43] offset0:3 offset1:4
	;; [unrolled: 1-line block ×4, first 2 shown]
.LBB18_20:                              ;   in Loop: Header=BB18_15 Depth=2
	s_and_not1_b32 vcc_lo, exec_lo, s36
	s_cbranch_vccnz .LBB18_22
; %bb.21:                               ;   in Loop: Header=BB18_15 Depth=2
	s_clause 0x7
	global_load_b64 v[36:37], v33, s[8:9] scale_offset
	global_load_b64 v[38:39], v30, s[8:9] scale_offset
	;; [unrolled: 1-line block ×8, first 2 shown]
	s_wait_xcnt 0x4
	v_mov_b64_e32 v[2:3], s[28:29]
	s_wait_xcnt 0x3
	v_mov_b64_e32 v[30:31], s[2:3]
	s_wait_loadcnt 0x7
	s_wait_xcnt 0x2
	s_delay_alu instid0(VALU_DEP_2)
	v_pk_mul_f32 v[34:35], v[36:37], v[2:3] op_sel:[1,0]
	s_wait_loadcnt 0x6
	s_wait_xcnt 0x0
	v_pk_mul_f32 v[32:33], v[38:39], v[2:3] op_sel:[1,0]
	s_wait_loadcnt 0x5
	v_pk_mul_f32 v[52:53], v[40:41], v[2:3] op_sel:[1,0]
	s_wait_loadcnt 0x4
	;; [unrolled: 2-line block ×4, first 2 shown]
	v_pk_mul_f32 v[56:57], v[46:47], v[2:3] op_sel:[1,0]
	v_pk_fma_f32 v[32:33], v[30:31], v[38:39], v[32:33] op_sel_hi:[1,0,1]
	s_wait_loadcnt 0x0
	v_pk_mul_f32 v[60:61], v[50:51], v[2:3] op_sel:[1,0]
	v_pk_mul_f32 v[2:3], v[48:49], v[2:3] op_sel:[1,0]
	v_pk_fma_f32 v[34:35], v[30:31], v[36:37], v[34:35] op_sel_hi:[1,0,1]
	v_pk_fma_f32 v[36:37], v[30:31], v[40:41], v[52:53] op_sel_hi:[1,0,1]
	v_pk_fma_f32 v[38:39], v[30:31], v[42:43], v[54:55] op_sel_hi:[1,0,1]
	v_pk_fma_f32 v[40:41], v[30:31], v[46:47], v[56:57] op_sel_hi:[1,0,1]
	v_pk_fma_f32 v[42:43], v[30:31], v[44:45], v[58:59] op_sel_hi:[1,0,1]
	v_pk_fma_f32 v[44:45], v[30:31], v[50:51], v[60:61] op_sel_hi:[1,0,1]
	v_pk_fma_f32 v[2:3], v[30:31], v[48:49], v[2:3] op_sel_hi:[1,0,1]
	ds_store_2addr_b64 v1, v[32:33], v[34:35] offset0:1 offset1:2
	ds_store_2addr_b64 v1, v[36:37], v[38:39] offset0:3 offset1:4
	;; [unrolled: 1-line block ×4, first 2 shown]
.LBB18_22:                              ;   in Loop: Header=BB18_15 Depth=2
	s_wait_xcnt 0x0
	s_or_b32 exec_lo, exec_lo, s35
	s_mov_b32 s35, -1
	s_and_saveexec_b32 s36, s0
	s_cbranch_execz .LBB18_14
; %bb.23:                               ;   in Loop: Header=BB18_15 Depth=2
	v_add_nc_u32_e32 v15, 32, v15
	v_add_nc_u32_e32 v0, 0x120, v0
	s_delay_alu instid0(VALU_DEP_2)
	v_cmp_ge_i32_e32 vcc_lo, v15, v12
	s_or_not1_b32 s35, vcc_lo, exec_lo
	s_branch .LBB18_14
.LBB18_24:                              ;   in Loop: Header=BB18_12 Depth=1
	s_or_b32 exec_lo, exec_lo, s34
.LBB18_25:                              ;   in Loop: Header=BB18_12 Depth=1
	s_delay_alu instid0(SALU_CYCLE_1) | instskip(NEXT) | instid1(SALU_CYCLE_1)
	s_or_b32 exec_lo, exec_lo, s33
	s_mov_b32 s33, exec_lo
	s_wait_dscnt 0x0
	v_cmpx_lt_i32_e64 v16, v13
	s_cbranch_execz .LBB18_38
; %bb.26:                               ;   in Loop: Header=BB18_12 Depth=1
	v_mad_u32 v30, v16, 9, 8
	s_mov_b32 s34, 0
	s_branch .LBB18_28
.LBB18_27:                              ;   in Loop: Header=BB18_28 Depth=2
	s_or_b32 exec_lo, exec_lo, s36
	s_delay_alu instid0(SALU_CYCLE_1) | instskip(NEXT) | instid1(SALU_CYCLE_1)
	s_and_b32 s0, exec_lo, s35
	s_or_b32 s34, s0, s34
	s_delay_alu instid0(SALU_CYCLE_1)
	s_and_not1_b32 exec_lo, exec_lo, s34
	s_cbranch_execz .LBB18_37
.LBB18_28:                              ;   Parent Loop BB18_12 Depth=1
                                        ; =>  This Inner Loop Header: Depth=2
	global_load_b32 v0, v16, s[14:15] scale_offset
	s_mov_b32 s35, exec_lo
	s_wait_loadcnt 0x0
	v_subrev_nc_u32_e32 v0, s5, v0
	s_delay_alu instid0(VALU_DEP_1) | instskip(NEXT) | instid1(VALU_DEP_1)
	v_sub_nc_u32_e32 v32, v0, v27
	v_cmp_gt_u32_e64 s0, 32, v32
	s_wait_xcnt 0x0
	v_cmpx_lt_u32_e32 31, v32
	s_xor_b32 s35, exec_lo, s35
; %bb.29:                               ;   in Loop: Header=BB18_28 Depth=2
	v_min_i32_e32 v29, v0, v29
                                        ; implicit-def: $vgpr32
; %bb.30:                               ;   in Loop: Header=BB18_28 Depth=2
	s_and_not1_saveexec_b32 s35, s35
	s_cbranch_execz .LBB18_35
; %bb.31:                               ;   in Loop: Header=BB18_28 Depth=2
	v_dual_add_nc_u32 v0, -8, v30 :: v_dual_add_nc_u32 v42, v10, v32
	v_mov_b64_e32 v[34:35], s[24:25]
	v_mov_b64_e32 v[38:39], s[30:31]
	v_add_nc_u32_e32 v33, -6, v30
	s_wait_kmcnt 0x0
	global_load_b64 v[36:37], v0, s[12:13] scale_offset
	s_wait_xcnt 0x0
	v_mul_lo_u32 v0, 0x48, v32
	s_mov_b32 s36, -1
	s_and_not1_b32 vcc_lo, exec_lo, s1
	s_delay_alu instid0(VALU_DEP_1)
	v_dual_add_nc_u32 v32, -5, v30 :: v_dual_add_nc_u32 v31, v11, v0
	ds_load_2addr_b64 v[0:3], v31 offset1:1
	s_wait_loadcnt_dscnt 0x0
	v_pk_fma_f32 v[40:41], v[34:35], v[36:37], v[0:1] op_sel_hi:[1,0,1]
	v_dual_add_nc_u32 v1, -2, v30 :: v_dual_add_nc_u32 v0, -7, v30
	v_dual_add_nc_u32 v35, -4, v30 :: v_dual_add_nc_u32 v34, -1, v30
	s_delay_alu instid0(VALU_DEP_3)
	v_pk_fma_f32 v[38:39], v[38:39], v[36:37], v[40:41] op_sel:[0,1,0]
	v_add_nc_u32_e32 v36, -3, v30
	ds_store_b8 v42, v28
	ds_store_b64 v31, v[38:39]
	s_cbranch_vccnz .LBB18_33
; %bb.32:                               ;   in Loop: Header=BB18_28 Depth=2
	s_clause 0x7
	global_load_b64 v[50:51], v32, s[12:13] scale_offset
	global_load_b64 v[52:53], v1, s[12:13] scale_offset
	;; [unrolled: 1-line block ×8, first 2 shown]
	ds_load_2addr_b64 v[38:41], v31 offset0:2 offset1:3
	ds_load_2addr_b64 v[42:45], v31 offset0:4 offset1:5
	;; [unrolled: 1-line block ×3, first 2 shown]
	ds_load_b64 v[66:67], v31 offset:64
	v_mov_b64_e32 v[68:69], s[24:25]
	v_mov_b64_e32 v[70:71], s[30:31]
	s_mov_b32 s36, 0
	s_wait_loadcnt 0x7
	s_delay_alu instid0(VALU_DEP_2)
	v_pk_fma_f32 v[72:73], v[68:69], v[50:51], v[2:3] op_sel_hi:[1,0,1]
	s_wait_loadcnt_dscnt 0x603
	v_pk_fma_f32 v[38:39], v[68:69], v[52:53], v[38:39] op_sel_hi:[1,0,1]
	s_wait_loadcnt 0x5
	v_pk_fma_f32 v[40:41], v[68:69], v[54:55], v[40:41] op_sel_hi:[1,0,1]
	s_wait_loadcnt_dscnt 0x402
	v_pk_fma_f32 v[42:43], v[68:69], v[56:57], v[42:43] op_sel_hi:[1,0,1]
	s_wait_loadcnt 0x3
	;; [unrolled: 4-line block ×3, first 2 shown]
	v_pk_fma_f32 v[48:49], v[68:69], v[62:63], v[48:49] op_sel_hi:[1,0,1]
	s_wait_loadcnt_dscnt 0x0
	v_pk_fma_f32 v[66:67], v[68:69], v[64:65], v[66:67] op_sel_hi:[1,0,1]
	v_pk_fma_f32 v[50:51], v[70:71], v[50:51], v[72:73] op_sel:[0,1,0]
	v_pk_fma_f32 v[38:39], v[70:71], v[52:53], v[38:39] op_sel:[0,1,0]
	;; [unrolled: 1-line block ×8, first 2 shown]
	ds_store_2addr_b64 v31, v[50:51], v[38:39] offset0:1 offset1:2
	ds_store_2addr_b64 v31, v[40:41], v[42:43] offset0:3 offset1:4
	;; [unrolled: 1-line block ×4, first 2 shown]
.LBB18_33:                              ;   in Loop: Header=BB18_28 Depth=2
	s_and_not1_b32 vcc_lo, exec_lo, s36
	s_cbranch_vccnz .LBB18_35
; %bb.34:                               ;   in Loop: Header=BB18_28 Depth=2
	s_clause 0x7
	global_load_b64 v[44:45], v33, s[12:13] scale_offset
	global_load_b64 v[46:47], v0, s[12:13] scale_offset
	;; [unrolled: 1-line block ×8, first 2 shown]
	s_wait_xcnt 0x0
	ds_load_2addr_b64 v[32:35], v31 offset0:2 offset1:3
	ds_load_2addr_b64 v[36:39], v31 offset0:4 offset1:5
	ds_load_2addr_b64 v[40:43], v31 offset0:6 offset1:7
	ds_load_b64 v[0:1], v31 offset:64
	v_mov_b64_e32 v[60:61], s[24:25]
	v_mov_b64_e32 v[62:63], s[30:31]
	s_wait_loadcnt_dscnt 0x703
	s_delay_alu instid0(VALU_DEP_2)
	v_pk_fma_f32 v[32:33], v[60:61], v[44:45], v[32:33] op_sel_hi:[1,0,1]
	s_wait_loadcnt 0x6
	v_pk_fma_f32 v[2:3], v[60:61], v[46:47], v[2:3] op_sel_hi:[1,0,1]
	s_wait_loadcnt 0x5
	v_pk_fma_f32 v[34:35], v[60:61], v[48:49], v[34:35] op_sel_hi:[1,0,1]
	s_wait_loadcnt_dscnt 0x402
	v_pk_fma_f32 v[36:37], v[60:61], v[50:51], v[36:37] op_sel_hi:[1,0,1]
	s_wait_loadcnt_dscnt 0x301
	v_pk_fma_f32 v[40:41], v[60:61], v[52:53], v[40:41] op_sel_hi:[1,0,1]
	s_wait_loadcnt 0x2
	v_pk_fma_f32 v[38:39], v[60:61], v[54:55], v[38:39] op_sel_hi:[1,0,1]
	s_wait_loadcnt_dscnt 0x100
	v_pk_fma_f32 v[0:1], v[60:61], v[56:57], v[0:1] op_sel_hi:[1,0,1]
	s_wait_loadcnt 0x0
	v_pk_fma_f32 v[42:43], v[60:61], v[58:59], v[42:43] op_sel_hi:[1,0,1]
	v_pk_fma_f32 v[2:3], v[62:63], v[46:47], v[2:3] op_sel:[0,1,0]
	v_pk_fma_f32 v[32:33], v[62:63], v[44:45], v[32:33] op_sel:[0,1,0]
	;; [unrolled: 1-line block ×8, first 2 shown]
	ds_store_2addr_b64 v31, v[2:3], v[32:33] offset0:1 offset1:2
	ds_store_2addr_b64 v31, v[34:35], v[36:37] offset0:3 offset1:4
	;; [unrolled: 1-line block ×4, first 2 shown]
.LBB18_35:                              ;   in Loop: Header=BB18_28 Depth=2
	s_wait_xcnt 0x0
	s_or_b32 exec_lo, exec_lo, s35
	s_mov_b32 s35, -1
	s_and_saveexec_b32 s36, s0
	s_cbranch_execz .LBB18_27
; %bb.36:                               ;   in Loop: Header=BB18_28 Depth=2
	v_add_nc_u32_e32 v16, 32, v16
	v_add_nc_u32_e32 v30, 0x120, v30
	s_delay_alu instid0(VALU_DEP_2)
	v_cmp_ge_i32_e32 vcc_lo, v16, v13
	s_or_not1_b32 s35, vcc_lo, exec_lo
	s_branch .LBB18_27
.LBB18_37:                              ;   in Loop: Header=BB18_12 Depth=1
	s_or_b32 exec_lo, exec_lo, s34
.LBB18_38:                              ;   in Loop: Header=BB18_12 Depth=1
	s_delay_alu instid0(SALU_CYCLE_1)
	s_or_b32 exec_lo, exec_lo, s33
	s_wait_dscnt 0x0
	ds_load_u8 v0, v25
	s_mov_b32 s33, exec_lo
	s_wait_dscnt 0x0
	v_and_b32_e32 v1, 1, v0
	v_cmp_ne_u16_e32 vcc_lo, 0, v0
	s_delay_alu instid0(VALU_DEP_2)
	v_cmpx_eq_u32_e32 1, v1
	s_cbranch_execz .LBB18_11
; %bb.39:                               ;   in Loop: Header=BB18_12 Depth=1
	v_dual_add_nc_u32 v27, v19, v27 :: v_dual_bitop2_b32 v30, vcc_lo, v18 bitop3:0x40
	v_dual_add_nc_u32 v31, s6, v17 :: v_dual_add_nc_u32 v32, s7, v17
	v_dual_add_nc_u32 v34, s20, v17 :: v_dual_add_nc_u32 v36, s21, v17
	s_delay_alu instid0(VALU_DEP_3)
	v_bcnt_u32_b32 v30, v30, 0
	v_dual_add_nc_u32 v38, s23, v17 :: v_dual_add_nc_u32 v40, s27, v17
	ds_load_2addr_b64 v[0:3], v17 offset1:4
	v_add3_u32 v44, v14, v30, -1
	ds_load_b64 v[30:31], v31
	ds_load_b64 v[32:33], v32
	;; [unrolled: 1-line block ×6, first 2 shown]
	ds_load_b64 v[42:43], v17 offset:64
	v_lshl_add_u32 v45, v44, 3, v44
	s_wait_kmcnt 0x0
	global_store_b32 v44, v27, s[16:17] scale_offset
	s_wait_xcnt 0x0
	v_dual_add_nc_u32 v27, 1, v45 :: v_dual_add_nc_u32 v44, 2, v45
	v_dual_add_nc_u32 v46, 3, v45 :: v_dual_add_nc_u32 v47, 4, v45
	v_dual_add_nc_u32 v48, 5, v45 :: v_dual_add_nc_u32 v49, 6, v45
	v_dual_add_nc_u32 v50, 7, v45 :: v_dual_add_nc_u32 v51, 8, v45
	s_wait_dscnt 0x7
	global_store_b64 v45, v[0:1], s[18:19] scale_offset
	s_wait_dscnt 0x6
	global_store_b64 v27, v[30:31], s[18:19] scale_offset
	;; [unrolled: 2-line block ×3, first 2 shown]
	s_wait_dscnt 0x4
	s_clause 0x1
	global_store_b64 v46, v[34:35], s[18:19] scale_offset
	global_store_b64 v47, v[2:3], s[18:19] scale_offset
	s_wait_dscnt 0x3
	global_store_b64 v48, v[36:37], s[18:19] scale_offset
	s_wait_dscnt 0x2
	;; [unrolled: 2-line block ×4, first 2 shown]
	global_store_b64 v51, v[42:43], s[18:19] scale_offset
	s_branch .LBB18_11
.LBB18_40:
	s_sendmsg sendmsg(MSG_DEALLOC_VGPRS)
	s_endpgm
.LBB18_41:
	s_load_b32 s2, s[10:11], 0x0
	v_cndmask_b32_e64 v1, 0, 1, s3
	s_and_not1_b32 vcc_lo, exec_lo, s3
	s_mov_b32 s3, s11
	s_cbranch_vccnz .LBB18_2
.LBB18_42:
	s_load_b32 s3, s[10:11], 0x4
	v_cmp_ne_u32_e32 vcc_lo, 1, v1
	s_mov_b32 s24, s8
	s_cbranch_vccnz .LBB18_3
.LBB18_43:
	s_load_b32 s24, s[8:9], 0x0
	v_cmp_ne_u32_e32 vcc_lo, 1, v1
	s_mov_b32 s25, s9
	s_cbranch_vccz .LBB18_4
	s_branch .LBB18_5
	.section	.rodata,"a",@progbits
	.p2align	6, 0x0
	.amdhsa_kernel _ZN9rocsparseL39bsrgeam_wf_per_row_multipass_2_3_kernelILj256ELj3ELj32E21rocsparse_complex_numIfEEEv20rocsparse_direction_iiiNS_24const_host_device_scalarIT2_EEPKiS8_PKS5_S6_S8_S8_SA_S8_PiPS5_21rocsparse_index_base_SD_SD_b
		.amdhsa_group_segment_fixed_size 18688
		.amdhsa_private_segment_fixed_size 0
		.amdhsa_kernarg_size 120
		.amdhsa_user_sgpr_count 2
		.amdhsa_user_sgpr_dispatch_ptr 0
		.amdhsa_user_sgpr_queue_ptr 0
		.amdhsa_user_sgpr_kernarg_segment_ptr 1
		.amdhsa_user_sgpr_dispatch_id 0
		.amdhsa_user_sgpr_kernarg_preload_length 0
		.amdhsa_user_sgpr_kernarg_preload_offset 0
		.amdhsa_user_sgpr_private_segment_size 0
		.amdhsa_wavefront_size32 1
		.amdhsa_uses_dynamic_stack 0
		.amdhsa_enable_private_segment 0
		.amdhsa_system_sgpr_workgroup_id_x 1
		.amdhsa_system_sgpr_workgroup_id_y 0
		.amdhsa_system_sgpr_workgroup_id_z 0
		.amdhsa_system_sgpr_workgroup_info 0
		.amdhsa_system_vgpr_workitem_id 0
		.amdhsa_next_free_vgpr 74
		.amdhsa_next_free_sgpr 37
		.amdhsa_named_barrier_count 0
		.amdhsa_reserve_vcc 1
		.amdhsa_float_round_mode_32 0
		.amdhsa_float_round_mode_16_64 0
		.amdhsa_float_denorm_mode_32 3
		.amdhsa_float_denorm_mode_16_64 3
		.amdhsa_fp16_overflow 0
		.amdhsa_memory_ordered 1
		.amdhsa_forward_progress 1
		.amdhsa_inst_pref_size 27
		.amdhsa_round_robin_scheduling 0
		.amdhsa_exception_fp_ieee_invalid_op 0
		.amdhsa_exception_fp_denorm_src 0
		.amdhsa_exception_fp_ieee_div_zero 0
		.amdhsa_exception_fp_ieee_overflow 0
		.amdhsa_exception_fp_ieee_underflow 0
		.amdhsa_exception_fp_ieee_inexact 0
		.amdhsa_exception_int_div_zero 0
	.end_amdhsa_kernel
	.section	.text._ZN9rocsparseL39bsrgeam_wf_per_row_multipass_2_3_kernelILj256ELj3ELj32E21rocsparse_complex_numIfEEEv20rocsparse_direction_iiiNS_24const_host_device_scalarIT2_EEPKiS8_PKS5_S6_S8_S8_SA_S8_PiPS5_21rocsparse_index_base_SD_SD_b,"axG",@progbits,_ZN9rocsparseL39bsrgeam_wf_per_row_multipass_2_3_kernelILj256ELj3ELj32E21rocsparse_complex_numIfEEEv20rocsparse_direction_iiiNS_24const_host_device_scalarIT2_EEPKiS8_PKS5_S6_S8_S8_SA_S8_PiPS5_21rocsparse_index_base_SD_SD_b,comdat
.Lfunc_end18:
	.size	_ZN9rocsparseL39bsrgeam_wf_per_row_multipass_2_3_kernelILj256ELj3ELj32E21rocsparse_complex_numIfEEEv20rocsparse_direction_iiiNS_24const_host_device_scalarIT2_EEPKiS8_PKS5_S6_S8_S8_SA_S8_PiPS5_21rocsparse_index_base_SD_SD_b, .Lfunc_end18-_ZN9rocsparseL39bsrgeam_wf_per_row_multipass_2_3_kernelILj256ELj3ELj32E21rocsparse_complex_numIfEEEv20rocsparse_direction_iiiNS_24const_host_device_scalarIT2_EEPKiS8_PKS5_S6_S8_S8_SA_S8_PiPS5_21rocsparse_index_base_SD_SD_b
                                        ; -- End function
	.set _ZN9rocsparseL39bsrgeam_wf_per_row_multipass_2_3_kernelILj256ELj3ELj32E21rocsparse_complex_numIfEEEv20rocsparse_direction_iiiNS_24const_host_device_scalarIT2_EEPKiS8_PKS5_S6_S8_S8_SA_S8_PiPS5_21rocsparse_index_base_SD_SD_b.num_vgpr, 74
	.set _ZN9rocsparseL39bsrgeam_wf_per_row_multipass_2_3_kernelILj256ELj3ELj32E21rocsparse_complex_numIfEEEv20rocsparse_direction_iiiNS_24const_host_device_scalarIT2_EEPKiS8_PKS5_S6_S8_S8_SA_S8_PiPS5_21rocsparse_index_base_SD_SD_b.num_agpr, 0
	.set _ZN9rocsparseL39bsrgeam_wf_per_row_multipass_2_3_kernelILj256ELj3ELj32E21rocsparse_complex_numIfEEEv20rocsparse_direction_iiiNS_24const_host_device_scalarIT2_EEPKiS8_PKS5_S6_S8_S8_SA_S8_PiPS5_21rocsparse_index_base_SD_SD_b.numbered_sgpr, 37
	.set _ZN9rocsparseL39bsrgeam_wf_per_row_multipass_2_3_kernelILj256ELj3ELj32E21rocsparse_complex_numIfEEEv20rocsparse_direction_iiiNS_24const_host_device_scalarIT2_EEPKiS8_PKS5_S6_S8_S8_SA_S8_PiPS5_21rocsparse_index_base_SD_SD_b.num_named_barrier, 0
	.set _ZN9rocsparseL39bsrgeam_wf_per_row_multipass_2_3_kernelILj256ELj3ELj32E21rocsparse_complex_numIfEEEv20rocsparse_direction_iiiNS_24const_host_device_scalarIT2_EEPKiS8_PKS5_S6_S8_S8_SA_S8_PiPS5_21rocsparse_index_base_SD_SD_b.private_seg_size, 0
	.set _ZN9rocsparseL39bsrgeam_wf_per_row_multipass_2_3_kernelILj256ELj3ELj32E21rocsparse_complex_numIfEEEv20rocsparse_direction_iiiNS_24const_host_device_scalarIT2_EEPKiS8_PKS5_S6_S8_S8_SA_S8_PiPS5_21rocsparse_index_base_SD_SD_b.uses_vcc, 1
	.set _ZN9rocsparseL39bsrgeam_wf_per_row_multipass_2_3_kernelILj256ELj3ELj32E21rocsparse_complex_numIfEEEv20rocsparse_direction_iiiNS_24const_host_device_scalarIT2_EEPKiS8_PKS5_S6_S8_S8_SA_S8_PiPS5_21rocsparse_index_base_SD_SD_b.uses_flat_scratch, 0
	.set _ZN9rocsparseL39bsrgeam_wf_per_row_multipass_2_3_kernelILj256ELj3ELj32E21rocsparse_complex_numIfEEEv20rocsparse_direction_iiiNS_24const_host_device_scalarIT2_EEPKiS8_PKS5_S6_S8_S8_SA_S8_PiPS5_21rocsparse_index_base_SD_SD_b.has_dyn_sized_stack, 0
	.set _ZN9rocsparseL39bsrgeam_wf_per_row_multipass_2_3_kernelILj256ELj3ELj32E21rocsparse_complex_numIfEEEv20rocsparse_direction_iiiNS_24const_host_device_scalarIT2_EEPKiS8_PKS5_S6_S8_S8_SA_S8_PiPS5_21rocsparse_index_base_SD_SD_b.has_recursion, 0
	.set _ZN9rocsparseL39bsrgeam_wf_per_row_multipass_2_3_kernelILj256ELj3ELj32E21rocsparse_complex_numIfEEEv20rocsparse_direction_iiiNS_24const_host_device_scalarIT2_EEPKiS8_PKS5_S6_S8_S8_SA_S8_PiPS5_21rocsparse_index_base_SD_SD_b.has_indirect_call, 0
	.section	.AMDGPU.csdata,"",@progbits
; Kernel info:
; codeLenInByte = 3396
; TotalNumSgprs: 39
; NumVgprs: 74
; ScratchSize: 0
; MemoryBound: 0
; FloatMode: 240
; IeeeMode: 1
; LDSByteSize: 18688 bytes/workgroup (compile time only)
; SGPRBlocks: 0
; VGPRBlocks: 4
; NumSGPRsForWavesPerEU: 39
; NumVGPRsForWavesPerEU: 74
; NamedBarCnt: 0
; Occupancy: 12
; WaveLimiterHint : 1
; COMPUTE_PGM_RSRC2:SCRATCH_EN: 0
; COMPUTE_PGM_RSRC2:USER_SGPR: 2
; COMPUTE_PGM_RSRC2:TRAP_HANDLER: 0
; COMPUTE_PGM_RSRC2:TGID_X_EN: 1
; COMPUTE_PGM_RSRC2:TGID_Y_EN: 0
; COMPUTE_PGM_RSRC2:TGID_Z_EN: 0
; COMPUTE_PGM_RSRC2:TIDIG_COMP_CNT: 0
	.section	.text._ZN9rocsparseL39bsrgeam_wf_per_row_multipass_2_3_kernelILj256ELj3ELj64E21rocsparse_complex_numIfEEEv20rocsparse_direction_iiiNS_24const_host_device_scalarIT2_EEPKiS8_PKS5_S6_S8_S8_SA_S8_PiPS5_21rocsparse_index_base_SD_SD_b,"axG",@progbits,_ZN9rocsparseL39bsrgeam_wf_per_row_multipass_2_3_kernelILj256ELj3ELj64E21rocsparse_complex_numIfEEEv20rocsparse_direction_iiiNS_24const_host_device_scalarIT2_EEPKiS8_PKS5_S6_S8_S8_SA_S8_PiPS5_21rocsparse_index_base_SD_SD_b,comdat
	.globl	_ZN9rocsparseL39bsrgeam_wf_per_row_multipass_2_3_kernelILj256ELj3ELj64E21rocsparse_complex_numIfEEEv20rocsparse_direction_iiiNS_24const_host_device_scalarIT2_EEPKiS8_PKS5_S6_S8_S8_SA_S8_PiPS5_21rocsparse_index_base_SD_SD_b ; -- Begin function _ZN9rocsparseL39bsrgeam_wf_per_row_multipass_2_3_kernelILj256ELj3ELj64E21rocsparse_complex_numIfEEEv20rocsparse_direction_iiiNS_24const_host_device_scalarIT2_EEPKiS8_PKS5_S6_S8_S8_SA_S8_PiPS5_21rocsparse_index_base_SD_SD_b
	.p2align	8
	.type	_ZN9rocsparseL39bsrgeam_wf_per_row_multipass_2_3_kernelILj256ELj3ELj64E21rocsparse_complex_numIfEEEv20rocsparse_direction_iiiNS_24const_host_device_scalarIT2_EEPKiS8_PKS5_S6_S8_S8_SA_S8_PiPS5_21rocsparse_index_base_SD_SD_b,@function
_ZN9rocsparseL39bsrgeam_wf_per_row_multipass_2_3_kernelILj256ELj3ELj64E21rocsparse_complex_numIfEEEv20rocsparse_direction_iiiNS_24const_host_device_scalarIT2_EEPKiS8_PKS5_S6_S8_S8_SA_S8_PiPS5_21rocsparse_index_base_SD_SD_b: ; @_ZN9rocsparseL39bsrgeam_wf_per_row_multipass_2_3_kernelILj256ELj3ELj64E21rocsparse_complex_numIfEEEv20rocsparse_direction_iiiNS_24const_host_device_scalarIT2_EEPKiS8_PKS5_S6_S8_S8_SA_S8_PiPS5_21rocsparse_index_base_SD_SD_b
; %bb.0:
	s_clause 0x2
	s_load_b128 s[4:7], s[0:1], 0x68
	s_load_b64 s[10:11], s[0:1], 0x10
	s_load_b64 s[8:9], s[0:1], 0x30
	s_wait_kmcnt 0x0
	s_bitcmp1_b32 s7, 0
	s_cselect_b32 s2, -1, 0
	s_delay_alu instid0(SALU_CYCLE_1)
	s_xor_b32 s3, s2, -1
	s_and_b32 vcc_lo, exec_lo, s2
	s_mov_b32 s2, s10
	s_cbranch_vccz .LBB19_41
; %bb.1:
	v_cndmask_b32_e64 v1, 0, 1, s3
	s_and_not1_b32 vcc_lo, exec_lo, s3
	s_mov_b32 s3, s11
	s_cbranch_vccz .LBB19_42
.LBB19_2:
	s_delay_alu instid0(VALU_DEP_1)
	v_cmp_ne_u32_e32 vcc_lo, 1, v1
	s_mov_b32 s24, s8
	s_cbranch_vccz .LBB19_43
.LBB19_3:
	v_cmp_ne_u32_e32 vcc_lo, 1, v1
	s_mov_b32 s25, s9
	s_cbranch_vccnz .LBB19_5
.LBB19_4:
	s_load_b32 s25, s[8:9], 0x4
.LBB19_5:
	s_load_b96 s[20:22], s[0:1], 0x0
	s_bfe_u32 s7, ttmp6, 0x4000c
	s_wait_xcnt 0x0
	s_and_b32 s8, ttmp6, 15
	s_add_co_i32 s7, s7, 1
	s_getreg_b32 s9, hwreg(HW_REG_IB_STS2, 6, 4)
	s_mul_i32 s7, ttmp9, s7
	v_lshrrev_b32_e32 v1, 6, v0
	s_add_co_i32 s8, s8, s7
	s_cmp_eq_u32 s9, 0
	s_cselect_b32 s7, ttmp9, s8
	s_delay_alu instid0(SALU_CYCLE_1) | instskip(NEXT) | instid1(SALU_CYCLE_1)
	s_lshl_b32 s7, s7, 2
	v_and_or_b32 v6, 0x3fffffc, s7, v1
	s_mov_b32 s7, exec_lo
	s_wait_kmcnt 0x0
	s_delay_alu instid0(VALU_DEP_1)
	v_cmpx_gt_i32_e64 s21, v6
	s_cbranch_execz .LBB19_40
; %bb.6:
	s_clause 0x2
	s_load_b128 s[8:11], s[0:1], 0x18
	s_load_b128 s[12:15], s[0:1], 0x38
	s_load_b64 s[16:17], s[0:1], 0x50
	v_lshlrev_b32_e32 v8, 2, v6
	s_wait_kmcnt 0x0
	s_clause 0x1
	global_load_b64 v[2:3], v8, s[8:9]
	global_load_b64 v[4:5], v8, s[12:13]
	global_load_b32 v7, v6, s[16:17] scale_offset
	s_wait_loadcnt 0x2
	s_wait_xcnt 0x0
	v_subrev_nc_u32_e32 v6, s4, v2
	v_cmp_lt_i32_e32 vcc_lo, v2, v3
	v_mov_b32_e32 v2, s22
	s_and_saveexec_b32 s7, vcc_lo
	s_cbranch_execz .LBB19_8
; %bb.7:
	global_load_b32 v2, v6, s[10:11] scale_offset
	s_wait_loadcnt 0x0
	v_subrev_nc_u32_e32 v2, s4, v2
.LBB19_8:
	s_or_b32 exec_lo, exec_lo, s7
	s_clause 0x2
	s_load_b128 s[16:19], s[0:1], 0x58
	s_load_b64 s[8:9], s[0:1], 0x28
	s_load_b64 s[12:13], s[0:1], 0x48
	s_wait_loadcnt 0x1
	v_subrev_nc_u32_e32 v8, s5, v4
	v_cmp_lt_i32_e32 vcc_lo, v4, v5
	v_mov_b32_e32 v4, s22
	s_wait_xcnt 0x0
	s_and_saveexec_b32 s0, vcc_lo
	s_cbranch_execz .LBB19_10
; %bb.9:
	global_load_b32 v4, v8, s[14:15] scale_offset
	s_wait_loadcnt 0x0
	v_subrev_nc_u32_e32 v4, s5, v4
.LBB19_10:
	s_or_b32 exec_lo, exec_lo, s0
	s_delay_alu instid0(VALU_DEP_1)
	v_min_i32_e32 v27, v4, v2
	v_mbcnt_lo_u32_b32 v2, -1, 0
	v_and_b32_e32 v9, 63, v0
	v_subrev_nc_u32_e32 v14, s4, v3
	v_mul_u32_u24_e32 v13, 0x1200, v1
	s_movk_i32 s0, 0xc0
	v_subrev_nc_u32_e32 v15, s5, v5
	v_mul_u32_u24_e32 v3, 0x48, v9
	v_and_or_b32 v12, v0, s0, 0x4800
	v_bitop3_b32 v0, v0, 63, v0 bitop3:0xc
	s_wait_loadcnt 0x0
	v_subrev_nc_u32_e32 v16, s6, v7
	s_mov_b32 s26, 0
	v_mad_u32_u24 v19, 0x1200, v1, v3
	v_or_b32_e32 v1, 32, v2
	v_lshrrev_b64 v[4:5], v0, -1
	s_mov_b32 s27, s26
	s_mov_b32 s34, s26
	;; [unrolled: 1-line block ×3, first 2 shown]
	v_cmp_gt_i32_e32 vcc_lo, 32, v1
	s_cmp_lg_u32 s20, 0
	v_xor_b32_e32 v3, 16, v2
	v_mov_b64_e32 v[10:11], 0
	s_cselect_b32 s1, -1, 0
	v_cndmask_b32_e32 v1, v2, v1, vcc_lo
	v_dual_add_nc_u32 v18, v8, v9 :: v_dual_bitop2_b32 v0, 8, v2 bitop3:0x14
	v_cmp_gt_i32_e32 vcc_lo, 32, v3
	v_add_nc_u32_e32 v17, v6, v9
	s_delay_alu instid0(VALU_DEP_4)
	v_lshlrev_b32_e32 v20, 2, v1
	v_add_nc_u32_e32 v5, s6, v9
	s_xor_b32 s28, s3, 0x80000000
	v_dual_cndmask_b32 v1, v2, v3, vcc_lo :: v_dual_bitop2_b32 v3, 4, v2 bitop3:0x14
	v_cmp_gt_i32_e32 vcc_lo, 32, v0
	v_xor_b32_e32 v6, 2, v2
	s_xor_b32 s30, s25, 0x80000000
	v_dual_mov_b32 v28, 0 :: v_dual_mov_b32 v29, 1
	v_cndmask_b32_e32 v0, v2, v0, vcc_lo
	v_cmp_gt_i32_e32 vcc_lo, 32, v3
	v_dual_lshlrev_b32 v21, 2, v1 :: v_dual_bitop2_b32 v7, 1, v2 bitop3:0x14
	s_cmp_eq_u32 s20, 0
	s_delay_alu instid0(VALU_DEP_3)
	v_dual_cndmask_b32 v3, v2, v3 :: v_dual_lshlrev_b32 v22, 2, v0
	v_cmp_gt_i32_e32 vcc_lo, 32, v6
	s_cselect_b32 s6, 8, 24
	s_cselect_b32 s7, 16, 48
	;; [unrolled: 1-line block ×4, first 2 shown]
	v_cndmask_b32_e32 v6, v2, v6, vcc_lo
	v_cmp_gt_i32_e32 vcc_lo, 32, v7
	s_cselect_b32 s23, 48, 16
	s_mov_b32 s29, s2
	s_mov_b32 s31, s24
	v_dual_add_nc_u32 v26, v12, v9 :: v_dual_cndmask_b32 v2, v2, v7, vcc_lo
	v_dual_lshlrev_b32 v23, 2, v3 :: v_dual_lshlrev_b32 v24, 2, v6
	v_mov_b64_e32 v[6:7], s[26:27]
	v_mov_b64_e32 v[8:9], s[34:35]
	s_delay_alu instid0(VALU_DEP_4)
	v_lshlrev_b32_e32 v25, 2, v2
	s_cselect_b32 s27, 56, 40
	s_branch .LBB19_12
.LBB19_11:                              ;   in Loop: Header=BB19_12 Depth=1
	s_wait_xcnt 0x0
	s_or_b32 exec_lo, exec_lo, s33
	ds_bpermute_b32 v0, v20, v30
	s_bcnt1_i32_b32 s33, vcc_lo
	s_wait_dscnt 0x0
	v_dual_add_nc_u32 v16, s33, v16 :: v_dual_min_i32 v0, v0, v30
	ds_bpermute_b32 v1, v21, v0
	s_wait_dscnt 0x0
	v_min_i32_e32 v0, v1, v0
	ds_bpermute_b32 v1, v22, v0
	s_wait_dscnt 0x0
	v_min_i32_e32 v0, v1, v0
	;; [unrolled: 3-line block ×5, first 2 shown]
	s_delay_alu instid0(VALU_DEP_1) | instskip(SKIP_1) | instid1(SALU_CYCLE_1)
	v_cmp_le_i32_e64 s0, s22, v27
	s_or_b32 s26, s0, s26
	s_and_not1_b32 exec_lo, exec_lo, s26
	s_cbranch_execz .LBB19_40
.LBB19_12:                              ; =>This Loop Header: Depth=1
                                        ;     Child Loop BB19_15 Depth 2
                                        ;     Child Loop BB19_28 Depth 2
	v_mov_b32_e32 v30, s22
	s_mov_b32 s33, exec_lo
	ds_store_2addr_b64 v19, v[6:7], v[8:9] offset1:1
	ds_store_2addr_b64 v19, v[6:7], v[8:9] offset0:2 offset1:3
	ds_store_2addr_b64 v19, v[6:7], v[8:9] offset0:4 offset1:5
	;; [unrolled: 1-line block ×3, first 2 shown]
	ds_store_b8 v26, v28
	ds_store_b64 v19, v[10:11] offset:64
	s_wait_dscnt 0x0
	v_cmpx_lt_i32_e64 v17, v14
	s_cbranch_execz .LBB19_25
; %bb.13:                               ;   in Loop: Header=BB19_12 Depth=1
	v_mad_u32 v0, v17, 9, 8
	v_mov_b32_e32 v30, s22
	s_mov_b32 s34, 0
	s_branch .LBB19_15
.LBB19_14:                              ;   in Loop: Header=BB19_15 Depth=2
	s_or_b32 exec_lo, exec_lo, s36
	s_delay_alu instid0(SALU_CYCLE_1) | instskip(NEXT) | instid1(SALU_CYCLE_1)
	s_and_b32 s0, exec_lo, s35
	s_or_b32 s34, s0, s34
	s_delay_alu instid0(SALU_CYCLE_1)
	s_and_not1_b32 exec_lo, exec_lo, s34
	s_cbranch_execz .LBB19_24
.LBB19_15:                              ;   Parent Loop BB19_12 Depth=1
                                        ; =>  This Inner Loop Header: Depth=2
	global_load_b32 v1, v17, s[10:11] scale_offset
	s_mov_b32 s35, exec_lo
	s_wait_loadcnt 0x0
	v_subrev_nc_u32_e32 v2, s4, v1
	s_delay_alu instid0(VALU_DEP_1) | instskip(NEXT) | instid1(VALU_DEP_1)
	v_sub_nc_u32_e32 v1, v2, v27
	v_cmp_gt_u32_e64 s0, 64, v1
	s_wait_xcnt 0x0
	v_cmpx_lt_u32_e32 63, v1
	s_xor_b32 s35, exec_lo, s35
; %bb.16:                               ;   in Loop: Header=BB19_15 Depth=2
	v_min_i32_e32 v30, v2, v30
                                        ; implicit-def: $vgpr1
; %bb.17:                               ;   in Loop: Header=BB19_15 Depth=2
	s_and_not1_saveexec_b32 s35, s35
	s_cbranch_execz .LBB19_22
; %bb.18:                               ;   in Loop: Header=BB19_15 Depth=2
	v_dual_add_nc_u32 v2, -8, v0 :: v_dual_add_nc_u32 v42, v12, v1
	v_mul_lo_u32 v35, 0x48, v1
	v_mov_b64_e32 v[32:33], s[28:29]
	v_mov_b64_e32 v[38:39], s[2:3]
	s_wait_kmcnt 0x0
	global_load_b64 v[36:37], v2, s[8:9] scale_offset
	s_wait_xcnt 0x0
	v_dual_add_nc_u32 v2, -5, v0 :: v_dual_add_nc_u32 v31, -2, v0
	v_dual_add_nc_u32 v3, -7, v0 :: v_dual_add_nc_u32 v34, -4, v0
	s_mov_b32 s36, -1
	s_and_not1_b32 vcc_lo, exec_lo, s1
	v_dual_add_nc_u32 v1, v13, v35 :: v_dual_add_nc_u32 v35, -3, v0
	s_wait_loadcnt 0x0
	v_pk_mul_f32 v[40:41], v[36:37], v[32:33] op_sel:[1,0]
	v_dual_add_nc_u32 v32, -1, v0 :: v_dual_add_nc_u32 v33, -6, v0
	s_delay_alu instid0(VALU_DEP_2)
	v_pk_fma_f32 v[36:37], v[38:39], v[36:37], v[40:41] op_sel_hi:[1,0,1]
	ds_store_b8 v42, v29
	ds_store_b64 v1, v[36:37]
	s_cbranch_vccnz .LBB19_20
; %bb.19:                               ;   in Loop: Header=BB19_15 Depth=2
	s_clause 0x7
	global_load_b64 v[36:37], v2, s[8:9] scale_offset
	global_load_b64 v[38:39], v31, s[8:9] scale_offset
	;; [unrolled: 1-line block ×8, first 2 shown]
	v_mov_b64_e32 v[52:53], s[28:29]
	v_mov_b64_e32 v[54:55], s[2:3]
	s_mov_b32 s36, 0
	s_wait_loadcnt 0x7
	s_delay_alu instid0(VALU_DEP_2)
	v_pk_mul_f32 v[56:57], v[36:37], v[52:53] op_sel:[1,0]
	s_wait_loadcnt 0x6
	v_pk_mul_f32 v[58:59], v[38:39], v[52:53] op_sel:[1,0]
	s_wait_loadcnt 0x5
	;; [unrolled: 2-line block ×7, first 2 shown]
	v_pk_mul_f32 v[52:53], v[50:51], v[52:53] op_sel:[1,0]
	v_pk_fma_f32 v[36:37], v[54:55], v[36:37], v[56:57] op_sel_hi:[1,0,1]
	v_pk_fma_f32 v[38:39], v[54:55], v[38:39], v[58:59] op_sel_hi:[1,0,1]
	;; [unrolled: 1-line block ×8, first 2 shown]
	ds_store_2addr_b64 v1, v[36:37], v[38:39] offset0:1 offset1:2
	ds_store_2addr_b64 v1, v[40:41], v[42:43] offset0:3 offset1:4
	;; [unrolled: 1-line block ×4, first 2 shown]
.LBB19_20:                              ;   in Loop: Header=BB19_15 Depth=2
	s_and_not1_b32 vcc_lo, exec_lo, s36
	s_cbranch_vccnz .LBB19_22
; %bb.21:                               ;   in Loop: Header=BB19_15 Depth=2
	s_clause 0x7
	global_load_b64 v[36:37], v33, s[8:9] scale_offset
	global_load_b64 v[38:39], v3, s[8:9] scale_offset
	;; [unrolled: 1-line block ×8, first 2 shown]
	s_wait_xcnt 0x5
	v_mov_b64_e32 v[2:3], s[28:29]
	s_wait_xcnt 0x0
	v_mov_b64_e32 v[32:33], s[2:3]
	s_wait_loadcnt 0x7
	s_delay_alu instid0(VALU_DEP_2)
	v_pk_mul_f32 v[52:53], v[36:37], v[2:3] op_sel:[1,0]
	s_wait_loadcnt 0x6
	v_pk_mul_f32 v[34:35], v[38:39], v[2:3] op_sel:[1,0]
	s_wait_loadcnt 0x5
	;; [unrolled: 2-line block ×5, first 2 shown]
	v_pk_mul_f32 v[58:59], v[46:47], v[2:3] op_sel:[1,0]
	v_pk_fma_f32 v[34:35], v[32:33], v[38:39], v[34:35] op_sel_hi:[1,0,1]
	s_wait_loadcnt 0x0
	v_pk_mul_f32 v[62:63], v[50:51], v[2:3] op_sel:[1,0]
	v_pk_mul_f32 v[2:3], v[48:49], v[2:3] op_sel:[1,0]
	v_pk_fma_f32 v[36:37], v[32:33], v[36:37], v[52:53] op_sel_hi:[1,0,1]
	v_pk_fma_f32 v[38:39], v[32:33], v[40:41], v[54:55] op_sel_hi:[1,0,1]
	;; [unrolled: 1-line block ×7, first 2 shown]
	ds_store_2addr_b64 v1, v[34:35], v[36:37] offset0:1 offset1:2
	ds_store_2addr_b64 v1, v[38:39], v[40:41] offset0:3 offset1:4
	;; [unrolled: 1-line block ×4, first 2 shown]
.LBB19_22:                              ;   in Loop: Header=BB19_15 Depth=2
	s_wait_xcnt 0x0
	s_or_b32 exec_lo, exec_lo, s35
	s_mov_b32 s35, -1
	s_and_saveexec_b32 s36, s0
	s_cbranch_execz .LBB19_14
; %bb.23:                               ;   in Loop: Header=BB19_15 Depth=2
	v_add_nc_u32_e32 v17, 64, v17
	v_add_nc_u32_e32 v0, 0x240, v0
	s_delay_alu instid0(VALU_DEP_2)
	v_cmp_ge_i32_e32 vcc_lo, v17, v14
	s_or_not1_b32 s35, vcc_lo, exec_lo
	s_branch .LBB19_14
.LBB19_24:                              ;   in Loop: Header=BB19_12 Depth=1
	s_or_b32 exec_lo, exec_lo, s34
.LBB19_25:                              ;   in Loop: Header=BB19_12 Depth=1
	s_delay_alu instid0(SALU_CYCLE_1) | instskip(NEXT) | instid1(SALU_CYCLE_1)
	s_or_b32 exec_lo, exec_lo, s33
	s_mov_b32 s33, exec_lo
	s_wait_dscnt 0x0
	v_cmpx_lt_i32_e64 v18, v15
	s_cbranch_execz .LBB19_38
; %bb.26:                               ;   in Loop: Header=BB19_12 Depth=1
	v_mad_u32 v31, v18, 9, 8
	s_mov_b32 s34, 0
	s_branch .LBB19_28
.LBB19_27:                              ;   in Loop: Header=BB19_28 Depth=2
	s_or_b32 exec_lo, exec_lo, s36
	s_delay_alu instid0(SALU_CYCLE_1) | instskip(NEXT) | instid1(SALU_CYCLE_1)
	s_and_b32 s0, exec_lo, s35
	s_or_b32 s34, s0, s34
	s_delay_alu instid0(SALU_CYCLE_1)
	s_and_not1_b32 exec_lo, exec_lo, s34
	s_cbranch_execz .LBB19_37
.LBB19_28:                              ;   Parent Loop BB19_12 Depth=1
                                        ; =>  This Inner Loop Header: Depth=2
	global_load_b32 v0, v18, s[14:15] scale_offset
	s_mov_b32 s35, exec_lo
	s_wait_loadcnt 0x0
	v_subrev_nc_u32_e32 v0, s5, v0
	s_delay_alu instid0(VALU_DEP_1) | instskip(NEXT) | instid1(VALU_DEP_1)
	v_sub_nc_u32_e32 v33, v0, v27
	v_cmp_gt_u32_e64 s0, 64, v33
	s_wait_xcnt 0x0
	v_cmpx_lt_u32_e32 63, v33
	s_xor_b32 s35, exec_lo, s35
; %bb.29:                               ;   in Loop: Header=BB19_28 Depth=2
	v_min_i32_e32 v30, v0, v30
                                        ; implicit-def: $vgpr33
; %bb.30:                               ;   in Loop: Header=BB19_28 Depth=2
	s_and_not1_saveexec_b32 s35, s35
	s_cbranch_execz .LBB19_35
; %bb.31:                               ;   in Loop: Header=BB19_28 Depth=2
	v_dual_add_nc_u32 v0, -8, v31 :: v_dual_add_nc_u32 v44, v12, v33
	v_mov_b64_e32 v[34:35], s[24:25]
	v_mov_b64_e32 v[40:41], s[30:31]
	v_add_nc_u32_e32 v36, -4, v31
	s_wait_kmcnt 0x0
	global_load_b64 v[38:39], v0, s[12:13] scale_offset
	s_wait_xcnt 0x0
	v_mul_lo_u32 v0, 0x48, v33
	s_mov_b32 s36, -1
	s_and_not1_b32 vcc_lo, exec_lo, s1
	v_dual_add_nc_u32 v33, -5, v31 :: v_dual_add_nc_u32 v37, -3, v31
	s_delay_alu instid0(VALU_DEP_2)
	v_add_nc_u32_e32 v32, v13, v0
	ds_load_2addr_b64 v[0:3], v32 offset1:1
	s_wait_loadcnt_dscnt 0x0
	v_pk_fma_f32 v[42:43], v[34:35], v[38:39], v[0:1] op_sel_hi:[1,0,1]
	v_dual_add_nc_u32 v1, -2, v31 :: v_dual_add_nc_u32 v0, -7, v31
	v_dual_add_nc_u32 v35, -1, v31 :: v_dual_add_nc_u32 v34, -6, v31
	s_delay_alu instid0(VALU_DEP_3)
	v_pk_fma_f32 v[38:39], v[40:41], v[38:39], v[42:43] op_sel:[0,1,0]
	ds_store_b8 v44, v29
	ds_store_b64 v32, v[38:39]
	s_cbranch_vccnz .LBB19_33
; %bb.32:                               ;   in Loop: Header=BB19_28 Depth=2
	s_clause 0x7
	global_load_b64 v[50:51], v33, s[12:13] scale_offset
	global_load_b64 v[52:53], v1, s[12:13] scale_offset
	;; [unrolled: 1-line block ×8, first 2 shown]
	ds_load_2addr_b64 v[38:41], v32 offset0:2 offset1:3
	ds_load_2addr_b64 v[42:45], v32 offset0:4 offset1:5
	;; [unrolled: 1-line block ×3, first 2 shown]
	ds_load_b64 v[66:67], v32 offset:64
	v_mov_b64_e32 v[68:69], s[24:25]
	v_mov_b64_e32 v[70:71], s[30:31]
	s_mov_b32 s36, 0
	s_wait_loadcnt 0x7
	s_delay_alu instid0(VALU_DEP_2)
	v_pk_fma_f32 v[72:73], v[68:69], v[50:51], v[2:3] op_sel_hi:[1,0,1]
	s_wait_loadcnt_dscnt 0x603
	v_pk_fma_f32 v[38:39], v[68:69], v[52:53], v[38:39] op_sel_hi:[1,0,1]
	s_wait_loadcnt 0x5
	v_pk_fma_f32 v[40:41], v[68:69], v[54:55], v[40:41] op_sel_hi:[1,0,1]
	s_wait_loadcnt_dscnt 0x402
	v_pk_fma_f32 v[42:43], v[68:69], v[56:57], v[42:43] op_sel_hi:[1,0,1]
	s_wait_loadcnt 0x3
	;; [unrolled: 4-line block ×3, first 2 shown]
	v_pk_fma_f32 v[48:49], v[68:69], v[62:63], v[48:49] op_sel_hi:[1,0,1]
	s_wait_loadcnt_dscnt 0x0
	v_pk_fma_f32 v[66:67], v[68:69], v[64:65], v[66:67] op_sel_hi:[1,0,1]
	v_pk_fma_f32 v[50:51], v[70:71], v[50:51], v[72:73] op_sel:[0,1,0]
	v_pk_fma_f32 v[38:39], v[70:71], v[52:53], v[38:39] op_sel:[0,1,0]
	;; [unrolled: 1-line block ×8, first 2 shown]
	ds_store_2addr_b64 v32, v[50:51], v[38:39] offset0:1 offset1:2
	ds_store_2addr_b64 v32, v[40:41], v[42:43] offset0:3 offset1:4
	;; [unrolled: 1-line block ×4, first 2 shown]
.LBB19_33:                              ;   in Loop: Header=BB19_28 Depth=2
	s_and_not1_b32 vcc_lo, exec_lo, s36
	s_cbranch_vccnz .LBB19_35
; %bb.34:                               ;   in Loop: Header=BB19_28 Depth=2
	s_clause 0x7
	global_load_b64 v[46:47], v34, s[12:13] scale_offset
	global_load_b64 v[48:49], v0, s[12:13] scale_offset
	;; [unrolled: 1-line block ×8, first 2 shown]
	s_wait_xcnt 0x0
	ds_load_2addr_b64 v[34:37], v32 offset0:2 offset1:3
	ds_load_2addr_b64 v[38:41], v32 offset0:4 offset1:5
	;; [unrolled: 1-line block ×3, first 2 shown]
	ds_load_b64 v[0:1], v32 offset:64
	v_mov_b64_e32 v[62:63], s[24:25]
	v_mov_b64_e32 v[64:65], s[30:31]
	s_wait_loadcnt_dscnt 0x703
	s_delay_alu instid0(VALU_DEP_2)
	v_pk_fma_f32 v[34:35], v[62:63], v[46:47], v[34:35] op_sel_hi:[1,0,1]
	s_wait_loadcnt 0x6
	v_pk_fma_f32 v[2:3], v[62:63], v[48:49], v[2:3] op_sel_hi:[1,0,1]
	s_wait_loadcnt 0x5
	v_pk_fma_f32 v[36:37], v[62:63], v[50:51], v[36:37] op_sel_hi:[1,0,1]
	s_wait_loadcnt_dscnt 0x402
	v_pk_fma_f32 v[38:39], v[62:63], v[52:53], v[38:39] op_sel_hi:[1,0,1]
	s_wait_loadcnt_dscnt 0x301
	v_pk_fma_f32 v[42:43], v[62:63], v[54:55], v[42:43] op_sel_hi:[1,0,1]
	s_wait_loadcnt 0x2
	v_pk_fma_f32 v[40:41], v[62:63], v[56:57], v[40:41] op_sel_hi:[1,0,1]
	s_wait_loadcnt_dscnt 0x100
	v_pk_fma_f32 v[0:1], v[62:63], v[58:59], v[0:1] op_sel_hi:[1,0,1]
	s_wait_loadcnt 0x0
	v_pk_fma_f32 v[44:45], v[62:63], v[60:61], v[44:45] op_sel_hi:[1,0,1]
	v_pk_fma_f32 v[2:3], v[64:65], v[48:49], v[2:3] op_sel:[0,1,0]
	v_pk_fma_f32 v[34:35], v[64:65], v[46:47], v[34:35] op_sel:[0,1,0]
	;; [unrolled: 1-line block ×8, first 2 shown]
	ds_store_2addr_b64 v32, v[2:3], v[34:35] offset0:1 offset1:2
	ds_store_2addr_b64 v32, v[36:37], v[38:39] offset0:3 offset1:4
	;; [unrolled: 1-line block ×4, first 2 shown]
.LBB19_35:                              ;   in Loop: Header=BB19_28 Depth=2
	s_wait_xcnt 0x0
	s_or_b32 exec_lo, exec_lo, s35
	s_mov_b32 s35, -1
	s_and_saveexec_b32 s36, s0
	s_cbranch_execz .LBB19_27
; %bb.36:                               ;   in Loop: Header=BB19_28 Depth=2
	v_add_nc_u32_e32 v18, 64, v18
	v_add_nc_u32_e32 v31, 0x240, v31
	s_delay_alu instid0(VALU_DEP_2)
	v_cmp_ge_i32_e32 vcc_lo, v18, v15
	s_or_not1_b32 s35, vcc_lo, exec_lo
	s_branch .LBB19_27
.LBB19_37:                              ;   in Loop: Header=BB19_12 Depth=1
	s_or_b32 exec_lo, exec_lo, s34
.LBB19_38:                              ;   in Loop: Header=BB19_12 Depth=1
	s_delay_alu instid0(SALU_CYCLE_1)
	s_or_b32 exec_lo, exec_lo, s33
	s_wait_dscnt 0x0
	ds_load_u8 v0, v26
	s_mov_b32 s33, exec_lo
	s_wait_dscnt 0x0
	v_and_b32_e32 v1, 1, v0
	v_cmp_ne_u16_e32 vcc_lo, 0, v0
	s_delay_alu instid0(VALU_DEP_2)
	v_cmpx_eq_u32_e32 1, v1
	s_cbranch_execz .LBB19_11
; %bb.39:                               ;   in Loop: Header=BB19_12 Depth=1
	v_dual_add_nc_u32 v32, s6, v19 :: v_dual_add_nc_u32 v34, s7, v19
	v_dual_add_nc_u32 v36, s20, v19 :: v_dual_add_nc_u32 v38, s21, v19
	v_dual_add_nc_u32 v27, v5, v27 :: v_dual_bitop2_b32 v31, vcc_lo, v4 bitop3:0x40
	v_dual_add_nc_u32 v40, s23, v19 :: v_dual_add_nc_u32 v42, s27, v19
	ds_load_2addr_b64 v[0:3], v19 offset1:4
	ds_load_b64 v[32:33], v32
	ds_load_b64 v[34:35], v34
	;; [unrolled: 1-line block ×6, first 2 shown]
	ds_load_b64 v[44:45], v19 offset:64
	v_bcnt_u32_b32 v31, v31, 0
	s_delay_alu instid0(VALU_DEP_1) | instskip(NEXT) | instid1(VALU_DEP_1)
	v_add3_u32 v31, v16, v31, -1
	v_lshl_add_u32 v46, v31, 3, v31
	s_wait_kmcnt 0x0
	global_store_b32 v31, v27, s[16:17] scale_offset
	s_wait_xcnt 0x0
	v_dual_add_nc_u32 v27, 1, v46 :: v_dual_add_nc_u32 v31, 2, v46
	v_dual_add_nc_u32 v47, 3, v46 :: v_dual_add_nc_u32 v48, 4, v46
	;; [unrolled: 1-line block ×4, first 2 shown]
	s_wait_dscnt 0x7
	global_store_b64 v46, v[0:1], s[18:19] scale_offset
	s_wait_dscnt 0x6
	global_store_b64 v27, v[32:33], s[18:19] scale_offset
	;; [unrolled: 2-line block ×3, first 2 shown]
	s_wait_dscnt 0x4
	s_clause 0x1
	global_store_b64 v47, v[36:37], s[18:19] scale_offset
	global_store_b64 v48, v[2:3], s[18:19] scale_offset
	s_wait_dscnt 0x3
	global_store_b64 v49, v[38:39], s[18:19] scale_offset
	s_wait_dscnt 0x2
	;; [unrolled: 2-line block ×4, first 2 shown]
	global_store_b64 v52, v[44:45], s[18:19] scale_offset
	s_branch .LBB19_11
.LBB19_40:
	s_sendmsg sendmsg(MSG_DEALLOC_VGPRS)
	s_endpgm
.LBB19_41:
	s_load_b32 s2, s[10:11], 0x0
	v_cndmask_b32_e64 v1, 0, 1, s3
	s_and_not1_b32 vcc_lo, exec_lo, s3
	s_mov_b32 s3, s11
	s_cbranch_vccnz .LBB19_2
.LBB19_42:
	s_load_b32 s3, s[10:11], 0x4
	v_cmp_ne_u32_e32 vcc_lo, 1, v1
	s_mov_b32 s24, s8
	s_cbranch_vccnz .LBB19_3
.LBB19_43:
	s_load_b32 s24, s[8:9], 0x0
	v_cmp_ne_u32_e32 vcc_lo, 1, v1
	s_mov_b32 s25, s9
	s_cbranch_vccz .LBB19_4
	s_branch .LBB19_5
	.section	.rodata,"a",@progbits
	.p2align	6, 0x0
	.amdhsa_kernel _ZN9rocsparseL39bsrgeam_wf_per_row_multipass_2_3_kernelILj256ELj3ELj64E21rocsparse_complex_numIfEEEv20rocsparse_direction_iiiNS_24const_host_device_scalarIT2_EEPKiS8_PKS5_S6_S8_S8_SA_S8_PiPS5_21rocsparse_index_base_SD_SD_b
		.amdhsa_group_segment_fixed_size 18688
		.amdhsa_private_segment_fixed_size 0
		.amdhsa_kernarg_size 120
		.amdhsa_user_sgpr_count 2
		.amdhsa_user_sgpr_dispatch_ptr 0
		.amdhsa_user_sgpr_queue_ptr 0
		.amdhsa_user_sgpr_kernarg_segment_ptr 1
		.amdhsa_user_sgpr_dispatch_id 0
		.amdhsa_user_sgpr_kernarg_preload_length 0
		.amdhsa_user_sgpr_kernarg_preload_offset 0
		.amdhsa_user_sgpr_private_segment_size 0
		.amdhsa_wavefront_size32 1
		.amdhsa_uses_dynamic_stack 0
		.amdhsa_enable_private_segment 0
		.amdhsa_system_sgpr_workgroup_id_x 1
		.amdhsa_system_sgpr_workgroup_id_y 0
		.amdhsa_system_sgpr_workgroup_id_z 0
		.amdhsa_system_sgpr_workgroup_info 0
		.amdhsa_system_vgpr_workitem_id 0
		.amdhsa_next_free_vgpr 74
		.amdhsa_next_free_sgpr 37
		.amdhsa_named_barrier_count 0
		.amdhsa_reserve_vcc 1
		.amdhsa_float_round_mode_32 0
		.amdhsa_float_round_mode_16_64 0
		.amdhsa_float_denorm_mode_32 3
		.amdhsa_float_denorm_mode_16_64 3
		.amdhsa_fp16_overflow 0
		.amdhsa_memory_ordered 1
		.amdhsa_forward_progress 1
		.amdhsa_inst_pref_size 27
		.amdhsa_round_robin_scheduling 0
		.amdhsa_exception_fp_ieee_invalid_op 0
		.amdhsa_exception_fp_denorm_src 0
		.amdhsa_exception_fp_ieee_div_zero 0
		.amdhsa_exception_fp_ieee_overflow 0
		.amdhsa_exception_fp_ieee_underflow 0
		.amdhsa_exception_fp_ieee_inexact 0
		.amdhsa_exception_int_div_zero 0
	.end_amdhsa_kernel
	.section	.text._ZN9rocsparseL39bsrgeam_wf_per_row_multipass_2_3_kernelILj256ELj3ELj64E21rocsparse_complex_numIfEEEv20rocsparse_direction_iiiNS_24const_host_device_scalarIT2_EEPKiS8_PKS5_S6_S8_S8_SA_S8_PiPS5_21rocsparse_index_base_SD_SD_b,"axG",@progbits,_ZN9rocsparseL39bsrgeam_wf_per_row_multipass_2_3_kernelILj256ELj3ELj64E21rocsparse_complex_numIfEEEv20rocsparse_direction_iiiNS_24const_host_device_scalarIT2_EEPKiS8_PKS5_S6_S8_S8_SA_S8_PiPS5_21rocsparse_index_base_SD_SD_b,comdat
.Lfunc_end19:
	.size	_ZN9rocsparseL39bsrgeam_wf_per_row_multipass_2_3_kernelILj256ELj3ELj64E21rocsparse_complex_numIfEEEv20rocsparse_direction_iiiNS_24const_host_device_scalarIT2_EEPKiS8_PKS5_S6_S8_S8_SA_S8_PiPS5_21rocsparse_index_base_SD_SD_b, .Lfunc_end19-_ZN9rocsparseL39bsrgeam_wf_per_row_multipass_2_3_kernelILj256ELj3ELj64E21rocsparse_complex_numIfEEEv20rocsparse_direction_iiiNS_24const_host_device_scalarIT2_EEPKiS8_PKS5_S6_S8_S8_SA_S8_PiPS5_21rocsparse_index_base_SD_SD_b
                                        ; -- End function
	.set _ZN9rocsparseL39bsrgeam_wf_per_row_multipass_2_3_kernelILj256ELj3ELj64E21rocsparse_complex_numIfEEEv20rocsparse_direction_iiiNS_24const_host_device_scalarIT2_EEPKiS8_PKS5_S6_S8_S8_SA_S8_PiPS5_21rocsparse_index_base_SD_SD_b.num_vgpr, 74
	.set _ZN9rocsparseL39bsrgeam_wf_per_row_multipass_2_3_kernelILj256ELj3ELj64E21rocsparse_complex_numIfEEEv20rocsparse_direction_iiiNS_24const_host_device_scalarIT2_EEPKiS8_PKS5_S6_S8_S8_SA_S8_PiPS5_21rocsparse_index_base_SD_SD_b.num_agpr, 0
	.set _ZN9rocsparseL39bsrgeam_wf_per_row_multipass_2_3_kernelILj256ELj3ELj64E21rocsparse_complex_numIfEEEv20rocsparse_direction_iiiNS_24const_host_device_scalarIT2_EEPKiS8_PKS5_S6_S8_S8_SA_S8_PiPS5_21rocsparse_index_base_SD_SD_b.numbered_sgpr, 37
	.set _ZN9rocsparseL39bsrgeam_wf_per_row_multipass_2_3_kernelILj256ELj3ELj64E21rocsparse_complex_numIfEEEv20rocsparse_direction_iiiNS_24const_host_device_scalarIT2_EEPKiS8_PKS5_S6_S8_S8_SA_S8_PiPS5_21rocsparse_index_base_SD_SD_b.num_named_barrier, 0
	.set _ZN9rocsparseL39bsrgeam_wf_per_row_multipass_2_3_kernelILj256ELj3ELj64E21rocsparse_complex_numIfEEEv20rocsparse_direction_iiiNS_24const_host_device_scalarIT2_EEPKiS8_PKS5_S6_S8_S8_SA_S8_PiPS5_21rocsparse_index_base_SD_SD_b.private_seg_size, 0
	.set _ZN9rocsparseL39bsrgeam_wf_per_row_multipass_2_3_kernelILj256ELj3ELj64E21rocsparse_complex_numIfEEEv20rocsparse_direction_iiiNS_24const_host_device_scalarIT2_EEPKiS8_PKS5_S6_S8_S8_SA_S8_PiPS5_21rocsparse_index_base_SD_SD_b.uses_vcc, 1
	.set _ZN9rocsparseL39bsrgeam_wf_per_row_multipass_2_3_kernelILj256ELj3ELj64E21rocsparse_complex_numIfEEEv20rocsparse_direction_iiiNS_24const_host_device_scalarIT2_EEPKiS8_PKS5_S6_S8_S8_SA_S8_PiPS5_21rocsparse_index_base_SD_SD_b.uses_flat_scratch, 0
	.set _ZN9rocsparseL39bsrgeam_wf_per_row_multipass_2_3_kernelILj256ELj3ELj64E21rocsparse_complex_numIfEEEv20rocsparse_direction_iiiNS_24const_host_device_scalarIT2_EEPKiS8_PKS5_S6_S8_S8_SA_S8_PiPS5_21rocsparse_index_base_SD_SD_b.has_dyn_sized_stack, 0
	.set _ZN9rocsparseL39bsrgeam_wf_per_row_multipass_2_3_kernelILj256ELj3ELj64E21rocsparse_complex_numIfEEEv20rocsparse_direction_iiiNS_24const_host_device_scalarIT2_EEPKiS8_PKS5_S6_S8_S8_SA_S8_PiPS5_21rocsparse_index_base_SD_SD_b.has_recursion, 0
	.set _ZN9rocsparseL39bsrgeam_wf_per_row_multipass_2_3_kernelILj256ELj3ELj64E21rocsparse_complex_numIfEEEv20rocsparse_direction_iiiNS_24const_host_device_scalarIT2_EEPKiS8_PKS5_S6_S8_S8_SA_S8_PiPS5_21rocsparse_index_base_SD_SD_b.has_indirect_call, 0
	.section	.AMDGPU.csdata,"",@progbits
; Kernel info:
; codeLenInByte = 3432
; TotalNumSgprs: 39
; NumVgprs: 74
; ScratchSize: 0
; MemoryBound: 0
; FloatMode: 240
; IeeeMode: 1
; LDSByteSize: 18688 bytes/workgroup (compile time only)
; SGPRBlocks: 0
; VGPRBlocks: 4
; NumSGPRsForWavesPerEU: 39
; NumVGPRsForWavesPerEU: 74
; NamedBarCnt: 0
; Occupancy: 12
; WaveLimiterHint : 1
; COMPUTE_PGM_RSRC2:SCRATCH_EN: 0
; COMPUTE_PGM_RSRC2:USER_SGPR: 2
; COMPUTE_PGM_RSRC2:TRAP_HANDLER: 0
; COMPUTE_PGM_RSRC2:TGID_X_EN: 1
; COMPUTE_PGM_RSRC2:TGID_Y_EN: 0
; COMPUTE_PGM_RSRC2:TGID_Z_EN: 0
; COMPUTE_PGM_RSRC2:TIDIG_COMP_CNT: 0
	.section	.text._ZN9rocsparseL35bsrgeam_wf_per_row_multipass_kernelILj64ELj4E21rocsparse_complex_numIfEEEv20rocsparse_direction_iiiNS_24const_host_device_scalarIT1_EEPKiS8_PKS5_S6_S8_S8_SA_S8_PiPS5_21rocsparse_index_base_SD_SD_b,"axG",@progbits,_ZN9rocsparseL35bsrgeam_wf_per_row_multipass_kernelILj64ELj4E21rocsparse_complex_numIfEEEv20rocsparse_direction_iiiNS_24const_host_device_scalarIT1_EEPKiS8_PKS5_S6_S8_S8_SA_S8_PiPS5_21rocsparse_index_base_SD_SD_b,comdat
	.globl	_ZN9rocsparseL35bsrgeam_wf_per_row_multipass_kernelILj64ELj4E21rocsparse_complex_numIfEEEv20rocsparse_direction_iiiNS_24const_host_device_scalarIT1_EEPKiS8_PKS5_S6_S8_S8_SA_S8_PiPS5_21rocsparse_index_base_SD_SD_b ; -- Begin function _ZN9rocsparseL35bsrgeam_wf_per_row_multipass_kernelILj64ELj4E21rocsparse_complex_numIfEEEv20rocsparse_direction_iiiNS_24const_host_device_scalarIT1_EEPKiS8_PKS5_S6_S8_S8_SA_S8_PiPS5_21rocsparse_index_base_SD_SD_b
	.p2align	8
	.type	_ZN9rocsparseL35bsrgeam_wf_per_row_multipass_kernelILj64ELj4E21rocsparse_complex_numIfEEEv20rocsparse_direction_iiiNS_24const_host_device_scalarIT1_EEPKiS8_PKS5_S6_S8_S8_SA_S8_PiPS5_21rocsparse_index_base_SD_SD_b,@function
_ZN9rocsparseL35bsrgeam_wf_per_row_multipass_kernelILj64ELj4E21rocsparse_complex_numIfEEEv20rocsparse_direction_iiiNS_24const_host_device_scalarIT1_EEPKiS8_PKS5_S6_S8_S8_SA_S8_PiPS5_21rocsparse_index_base_SD_SD_b: ; @_ZN9rocsparseL35bsrgeam_wf_per_row_multipass_kernelILj64ELj4E21rocsparse_complex_numIfEEEv20rocsparse_direction_iiiNS_24const_host_device_scalarIT1_EEPKiS8_PKS5_S6_S8_S8_SA_S8_PiPS5_21rocsparse_index_base_SD_SD_b
; %bb.0:
	s_clause 0x2
	s_load_b128 s[4:7], s[0:1], 0x68
	s_load_b64 s[8:9], s[0:1], 0x10
	s_load_b64 s[2:3], s[0:1], 0x30
	s_wait_kmcnt 0x0
	s_bitcmp1_b32 s7, 0
	s_mov_b32 s16, s8
	s_cselect_b32 s10, -1, 0
	s_delay_alu instid0(SALU_CYCLE_1)
	s_xor_b32 s7, s10, -1
	s_and_b32 vcc_lo, exec_lo, s10
	s_cbranch_vccnz .LBB20_63
; %bb.1:
	s_load_b32 s16, s[8:9], 0x0
	v_cndmask_b32_e64 v1, 0, 1, s7
	s_and_not1_b32 vcc_lo, exec_lo, s7
	s_mov_b32 s17, s9
	s_cbranch_vccz .LBB20_64
.LBB20_2:
	s_delay_alu instid0(VALU_DEP_1)
	v_cmp_ne_u32_e32 vcc_lo, 1, v1
	s_mov_b32 s18, s2
	s_cbranch_vccnz .LBB20_4
.LBB20_3:
	s_load_b32 s18, s[2:3], 0x0
.LBB20_4:
	s_load_b64 s[12:13], s[0:1], 0x18
	v_cmp_ne_u32_e32 vcc_lo, 1, v1
	s_mov_b32 s19, s3
	s_cbranch_vccnz .LBB20_6
; %bb.5:
	s_load_b32 s19, s[2:3], 0x4
.LBB20_6:
	s_wait_xcnt 0x0
	s_load_b128 s[8:11], s[0:1], 0x0
	s_bfe_u32 s2, ttmp6, 0x4000c
	s_and_b32 s3, ttmp6, 15
	s_add_co_i32 s2, s2, 1
	s_getreg_b32 s7, hwreg(HW_REG_IB_STS2, 6, 4)
	s_mul_i32 s2, ttmp9, s2
	v_dual_mov_b32 v2, 0 :: v_dual_lshrrev_b32 v1, 4, v0
	s_add_co_i32 s3, s3, s2
	s_cmp_eq_u32 s7, 0
	v_mov_b32_e32 v4, 0
	s_cselect_b32 s2, ttmp9, s3
	s_delay_alu instid0(SALU_CYCLE_1) | instskip(SKIP_1) | instid1(VALU_DEP_1)
	v_lshl_or_b32 v3, s2, 2, v1
	s_wait_kmcnt 0x0
	v_cmp_gt_i32_e64 s2, s9, v3
	v_cmp_le_i32_e32 vcc_lo, s9, v3
	s_and_saveexec_b32 s3, s2
	s_cbranch_execz .LBB20_8
; %bb.7:
	global_load_b32 v4, v3, s[12:13] scale_offset
	s_wait_loadcnt 0x0
	v_subrev_nc_u32_e32 v4, s4, v4
.LBB20_8:
	s_or_b32 exec_lo, exec_lo, s3
	s_load_b64 s[14:15], s[0:1], 0x38
	v_mov_b32_e32 v8, 0
	s_and_saveexec_b32 s3, s2
	s_cbranch_execz .LBB20_10
; %bb.9:
	global_load_b32 v5, v3, s[12:13] offset:4 scale_offset
	s_wait_loadcnt 0x0
	v_subrev_nc_u32_e32 v8, s4, v5
.LBB20_10:
	s_or_b32 exec_lo, exec_lo, s3
	s_and_saveexec_b32 s3, s2
	s_cbranch_execz .LBB20_12
; %bb.11:
	s_wait_kmcnt 0x0
	global_load_b32 v2, v3, s[14:15] scale_offset
	s_wait_loadcnt 0x0
	v_subrev_nc_u32_e32 v2, s5, v2
.LBB20_12:
	s_or_b32 exec_lo, exec_lo, s3
	v_dual_mov_b32 v10, 0 :: v_dual_mov_b32 v9, 0
	s_and_saveexec_b32 s3, s2
	s_cbranch_execz .LBB20_14
; %bb.13:
	s_wait_kmcnt 0x0
	global_load_b32 v5, v3, s[14:15] offset:4 scale_offset
	s_wait_loadcnt 0x0
	v_subrev_nc_u32_e32 v9, s5, v5
.LBB20_14:
	s_or_b32 exec_lo, exec_lo, s3
	s_and_saveexec_b32 s3, s2
	s_cbranch_execz .LBB20_16
; %bb.15:
	s_load_b64 s[12:13], s[0:1], 0x50
	s_wait_kmcnt 0x0
	global_load_b32 v3, v3, s[12:13] scale_offset
	s_wait_loadcnt 0x0
	v_subrev_nc_u32_e32 v10, s6, v3
.LBB20_16:
	s_or_b32 exec_lo, exec_lo, s3
	s_load_b64 s[20:21], s[0:1], 0x20
	v_mov_b32_e32 v3, s10
	s_mov_b32 s3, exec_lo
	v_cmpx_lt_i32_e64 v4, v8
	s_cbranch_execz .LBB20_18
; %bb.17:
	s_wait_kmcnt 0x0
	global_load_b32 v3, v4, s[20:21] scale_offset
	s_wait_loadcnt 0x0
	v_subrev_nc_u32_e32 v3, s4, v3
.LBB20_18:
	s_or_b32 exec_lo, exec_lo, s3
	s_load_b64 s[22:23], s[0:1], 0x40
	v_mov_b32_e32 v5, s10
	s_mov_b32 s3, exec_lo
	v_cmpx_lt_i32_e64 v2, v9
	s_cbranch_execz .LBB20_20
; %bb.19:
	s_wait_kmcnt 0x0
	global_load_b32 v5, v2, s[22:23] scale_offset
	s_wait_loadcnt 0x0
	v_subrev_nc_u32_e32 v5, s5, v5
.LBB20_20:
	s_or_b32 exec_lo, exec_lo, s3
	v_cndmask_b32_e64 v7, 0, 1, vcc_lo
	v_dual_mov_b32 v11, 0 :: v_dual_lshlrev_b32 v6, 2, v1
	ds_store_b32 v6, v7 offset:512
	s_wait_dscnt 0x0
	s_barrier_signal -1
	s_barrier_wait -1
	ds_load_b32 v7, v11 offset:512
	s_wait_dscnt 0x0
	v_cmp_lt_u32_e32 vcc_lo, 3, v7
	s_cbranch_vccnz .LBB20_65
; %bb.21:
	s_wait_kmcnt 0x0
	s_clause 0x2
	s_load_b128 s[12:15], s[0:1], 0x58
	s_load_b64 s[24:25], s[0:1], 0x28
	s_load_b64 s[26:27], s[0:1], 0x48
	v_dual_lshlrev_b32 v16, 3, v0 :: v_dual_bitop2_b32 v13, 3, v0 bitop3:0x40
	v_bfe_u32 v14, v0, 2, 2
	v_min_i32_e32 v21, v5, v3
	v_and_b32_e32 v3, 48, v0
	v_or_b32_e32 v12, 0x200, v6
	v_lshl_or_b32 v15, v1, 2, 0x210
	v_dual_lshlrev_b32 v6, 3, v13 :: v_dual_max_i32 v1, v14, v13
	s_delay_alu instid0(VALU_DEP_4) | instskip(SKIP_2) | instid1(VALU_DEP_3)
	v_dual_lshlrev_b32 v5, 5, v14 :: v_dual_lshlrev_b32 v3, 3, v3
	v_dual_lshlrev_b32 v7, 5, v13 :: v_dual_lshlrev_b32 v18, 3, v14
	s_wait_xcnt 0x0
	v_cmp_gt_i32_e64 s0, s11, v1
	v_cmp_gt_u32_e64 s1, 2, v0
	v_or3_b32 v17, v3, v5, v6
	v_lshl_or_b32 v19, v0, 2, 0x200
	v_or3_b32 v18, v3, v7, v18
	v_mov_b64_e32 v[6:7], 0
	v_cmp_eq_u32_e64 s2, 0, v0
	v_mov_b32_e32 v20, 1
	s_cmp_lg_u32 s8, 0
	s_mov_b32 s9, s16
	s_cselect_b32 s7, -1, 0
	s_xor_b32 s8, s17, 0x80000000
	s_xor_b32 s28, s19, 0x80000000
	s_mov_b32 s29, s18
	s_mul_i32 s30, s11, s11
	s_branch .LBB20_23
.LBB20_22:                              ;   in Loop: Header=BB20_23 Depth=1
	s_or_b32 exec_lo, exec_lo, s3
	s_wait_dscnt 0x0
	s_barrier_signal -1
	s_barrier_wait -1
	ds_load_b32 v0, v11 offset:512
	v_dual_mov_b32 v21, v5 :: v_dual_add_nc_u32 v10, 1, v10
	s_wait_dscnt 0x0
	v_cmp_gt_u32_e32 vcc_lo, 4, v0
	s_cbranch_vccz .LBB20_65
.LBB20_23:                              ; =>This Loop Header: Depth=1
                                        ;     Child Loop BB20_26 Depth 2
                                        ;     Child Loop BB20_41 Depth 2
	v_mov_b32_e32 v5, s10
	s_mov_b32 s31, exec_lo
	ds_store_b32 v15, v11
	ds_store_b64 v16, v[6:7]
	s_wait_dscnt 0x0
	s_barrier_signal -1
	s_barrier_wait -1
	v_cmpx_lt_i32_e64 v4, v8
	s_cbranch_execz .LBB20_38
; %bb.24:                               ;   in Loop: Header=BB20_23 Depth=1
	v_mul_lo_u32 v0, s11, v4
	v_dual_ashrrev_i32 v5, 31, v4 :: v_dual_mov_b32 v23, 0
	s_mov_b32 s33, 0
	s_delay_alu instid0(VALU_DEP_2) | instskip(NEXT) | instid1(VALU_DEP_1)
	v_dual_add_nc_u32 v1, v13, v0 :: v_dual_add_nc_u32 v0, v14, v0
	v_mad_u32 v3, s11, v1, v14
	s_delay_alu instid0(VALU_DEP_2)
	v_mad_u32 v22, s11, v0, v13
	v_lshl_add_u64 v[0:1], v[4:5], 2, s[20:21]
	v_mov_b32_e32 v5, s10
	s_branch .LBB20_26
.LBB20_25:                              ;   in Loop: Header=BB20_26 Depth=2
	s_or_b32 exec_lo, exec_lo, s35
	v_dual_mov_b32 v25, v4 :: v_dual_mov_b32 v4, v24
	s_and_b32 s3, exec_lo, s34
	s_delay_alu instid0(SALU_CYCLE_1) | instskip(NEXT) | instid1(SALU_CYCLE_1)
	s_or_b32 s33, s3, s33
	s_and_not1_b32 exec_lo, exec_lo, s33
	s_cbranch_execz .LBB20_37
.LBB20_26:                              ;   Parent Loop BB20_23 Depth=1
                                        ; =>  This Inner Loop Header: Depth=2
	global_load_b32 v24, v[0:1], off
	s_wait_loadcnt 0x0
	v_subrev_nc_u32_e32 v24, s4, v24
	s_delay_alu instid0(VALU_DEP_1) | instskip(SKIP_2) | instid1(SALU_CYCLE_1)
	v_cmp_le_i32_e64 s3, v24, v21
	s_wait_xcnt 0x0
	s_and_saveexec_b32 s34, s3
	s_xor_b32 s34, exec_lo, s34
	s_cbranch_execz .LBB20_32
; %bb.27:                               ;   in Loop: Header=BB20_26 Depth=2
	ds_store_b32 v15, v20
	s_and_saveexec_b32 s35, s0
	s_cbranch_execz .LBB20_31
; %bb.28:                               ;   in Loop: Header=BB20_26 Depth=2
	s_and_b32 vcc_lo, exec_lo, s7
	s_cbranch_vccz .LBB20_36
; %bb.29:                               ;   in Loop: Header=BB20_26 Depth=2
	v_add_nc_u32_e32 v24, v22, v23
	v_mov_b64_e32 v[26:27], s[8:9]
	v_mov_b64_e32 v[28:29], s[16:17]
	s_wait_kmcnt 0x0
	global_load_b64 v[24:25], v24, s[24:25] scale_offset
	s_wait_loadcnt 0x0
	v_pk_mul_f32 v[26:27], v[24:25], v[26:27] op_sel:[1,0]
	s_wait_xcnt 0x0
	s_delay_alu instid0(VALU_DEP_1)
	v_pk_fma_f32 v[24:25], v[28:29], v[24:25], v[26:27] op_sel_hi:[1,0,1]
	ds_store_b64 v17, v[24:25]
	s_cbranch_execnz .LBB20_31
.LBB20_30:                              ;   in Loop: Header=BB20_26 Depth=2
	v_add_nc_u32_e32 v24, v3, v23
	v_mov_b64_e32 v[26:27], s[8:9]
	v_mov_b64_e32 v[28:29], s[16:17]
	s_wait_kmcnt 0x0
	global_load_b64 v[24:25], v24, s[24:25] scale_offset
	s_wait_loadcnt 0x0
	v_pk_mul_f32 v[26:27], v[24:25], v[26:27] op_sel:[1,0]
	s_delay_alu instid0(VALU_DEP_1)
	v_pk_fma_f32 v[24:25], v[28:29], v[24:25], v[26:27] op_sel_hi:[1,0,1]
	ds_store_b64 v18, v[24:25]
.LBB20_31:                              ;   in Loop: Header=BB20_26 Depth=2
	s_or_b32 exec_lo, exec_lo, s35
                                        ; implicit-def: $vgpr24
	s_and_not1_saveexec_b32 s34, s34
	s_branch .LBB20_33
.LBB20_32:                              ;   in Loop: Header=BB20_26 Depth=2
	s_and_not1_saveexec_b32 s34, s34
.LBB20_33:                              ;   in Loop: Header=BB20_26 Depth=2
	v_min_i32_e32 v5, v24, v5
; %bb.34:                               ;   in Loop: Header=BB20_26 Depth=2
	s_or_b32 exec_lo, exec_lo, s34
	s_mov_b32 s34, -1
                                        ; implicit-def: $vgpr24
	s_and_saveexec_b32 s35, s3
	s_cbranch_execz .LBB20_25
; %bb.35:                               ;   in Loop: Header=BB20_26 Depth=2
	v_dual_add_nc_u32 v24, 1, v4 :: v_dual_add_nc_u32 v23, s30, v23
	v_add_nc_u64_e32 v[0:1], 4, v[0:1]
	v_mov_b32_e32 v4, v8
	s_delay_alu instid0(VALU_DEP_3)
	v_cmp_ge_i32_e32 vcc_lo, v24, v8
	s_or_not1_b32 s34, vcc_lo, exec_lo
	s_branch .LBB20_25
.LBB20_36:                              ;   in Loop: Header=BB20_26 Depth=2
	s_branch .LBB20_30
.LBB20_37:                              ;   in Loop: Header=BB20_23 Depth=1
	s_or_b32 exec_lo, exec_lo, s33
	v_mov_b32_e32 v4, v25
.LBB20_38:                              ;   in Loop: Header=BB20_23 Depth=1
	s_or_b32 exec_lo, exec_lo, s31
	s_delay_alu instid0(SALU_CYCLE_1)
	s_mov_b32 s31, exec_lo
	s_wait_dscnt 0x0
	s_barrier_signal -1
	s_barrier_wait -1
	v_cmpx_lt_i32_e64 v2, v9
	s_cbranch_execz .LBB20_53
; %bb.39:                               ;   in Loop: Header=BB20_23 Depth=1
	v_mul_lo_u32 v0, s11, v2
	v_ashrrev_i32_e32 v3, 31, v2
	s_mov_b32 s33, 0
	s_delay_alu instid0(VALU_DEP_2) | instskip(NEXT) | instid1(VALU_DEP_1)
	v_dual_add_nc_u32 v1, v13, v0 :: v_dual_add_nc_u32 v0, v14, v0
	v_mad_u32 v22, s11, v1, v14
	s_delay_alu instid0(VALU_DEP_2)
	v_mad_u32 v23, s11, v0, v13
	v_lshl_add_u64 v[0:1], v[2:3], 2, s[22:23]
	v_mov_b32_e32 v3, 0
	s_branch .LBB20_41
.LBB20_40:                              ;   in Loop: Header=BB20_41 Depth=2
	s_or_b32 exec_lo, exec_lo, s35
	v_dual_mov_b32 v25, v2 :: v_dual_mov_b32 v2, v24
	s_and_b32 s3, exec_lo, s34
	s_delay_alu instid0(SALU_CYCLE_1) | instskip(NEXT) | instid1(SALU_CYCLE_1)
	s_or_b32 s33, s3, s33
	s_and_not1_b32 exec_lo, exec_lo, s33
	s_cbranch_execz .LBB20_52
.LBB20_41:                              ;   Parent Loop BB20_23 Depth=1
                                        ; =>  This Inner Loop Header: Depth=2
	global_load_b32 v24, v[0:1], off
	s_wait_loadcnt 0x0
	v_subrev_nc_u32_e32 v24, s5, v24
	s_delay_alu instid0(VALU_DEP_1) | instskip(SKIP_2) | instid1(SALU_CYCLE_1)
	v_cmp_le_i32_e64 s3, v24, v21
	s_wait_xcnt 0x0
	s_and_saveexec_b32 s34, s3
	s_xor_b32 s34, exec_lo, s34
	s_cbranch_execz .LBB20_47
; %bb.42:                               ;   in Loop: Header=BB20_41 Depth=2
	ds_store_b32 v15, v20
	s_and_saveexec_b32 s35, s0
	s_cbranch_execz .LBB20_46
; %bb.43:                               ;   in Loop: Header=BB20_41 Depth=2
	s_and_b32 vcc_lo, exec_lo, s7
	s_cbranch_vccz .LBB20_51
; %bb.44:                               ;   in Loop: Header=BB20_41 Depth=2
	v_add_nc_u32_e32 v24, v23, v3
	ds_load_b64 v[26:27], v17
	v_mov_b64_e32 v[28:29], s[18:19]
	s_wait_kmcnt 0x0
	global_load_b64 v[24:25], v24, s[26:27] scale_offset
	s_wait_loadcnt_dscnt 0x0
	v_pk_fma_f32 v[26:27], v[28:29], v[24:25], v[26:27] op_sel_hi:[1,0,1]
	v_mov_b64_e32 v[28:29], s[28:29]
	s_wait_xcnt 0x0
	s_delay_alu instid0(VALU_DEP_1)
	v_pk_fma_f32 v[24:25], v[28:29], v[24:25], v[26:27] op_sel:[0,1,0]
	ds_store_b64 v17, v[24:25]
	s_cbranch_execnz .LBB20_46
.LBB20_45:                              ;   in Loop: Header=BB20_41 Depth=2
	v_add_nc_u32_e32 v24, v22, v3
	ds_load_b64 v[26:27], v18
	v_mov_b64_e32 v[28:29], s[18:19]
	s_wait_kmcnt 0x0
	global_load_b64 v[24:25], v24, s[26:27] scale_offset
	s_wait_loadcnt_dscnt 0x0
	v_pk_fma_f32 v[26:27], v[28:29], v[24:25], v[26:27] op_sel_hi:[1,0,1]
	v_mov_b64_e32 v[28:29], s[28:29]
	s_delay_alu instid0(VALU_DEP_1)
	v_pk_fma_f32 v[24:25], v[28:29], v[24:25], v[26:27] op_sel:[0,1,0]
	ds_store_b64 v18, v[24:25]
.LBB20_46:                              ;   in Loop: Header=BB20_41 Depth=2
	s_or_b32 exec_lo, exec_lo, s35
                                        ; implicit-def: $vgpr24
	s_and_not1_saveexec_b32 s34, s34
	s_branch .LBB20_48
.LBB20_47:                              ;   in Loop: Header=BB20_41 Depth=2
	s_and_not1_saveexec_b32 s34, s34
.LBB20_48:                              ;   in Loop: Header=BB20_41 Depth=2
	v_min_i32_e32 v5, v24, v5
; %bb.49:                               ;   in Loop: Header=BB20_41 Depth=2
	s_or_b32 exec_lo, exec_lo, s34
	s_mov_b32 s34, -1
                                        ; implicit-def: $vgpr24
	s_and_saveexec_b32 s35, s3
	s_cbranch_execz .LBB20_40
; %bb.50:                               ;   in Loop: Header=BB20_41 Depth=2
	v_dual_add_nc_u32 v24, 1, v2 :: v_dual_add_nc_u32 v3, s30, v3
	v_add_nc_u64_e32 v[0:1], 4, v[0:1]
	v_mov_b32_e32 v2, v9
	s_delay_alu instid0(VALU_DEP_3)
	v_cmp_ge_i32_e32 vcc_lo, v24, v9
	s_or_not1_b32 s34, vcc_lo, exec_lo
	s_branch .LBB20_40
.LBB20_51:                              ;   in Loop: Header=BB20_41 Depth=2
	s_branch .LBB20_45
.LBB20_52:                              ;   in Loop: Header=BB20_23 Depth=1
	s_or_b32 exec_lo, exec_lo, s33
	v_mov_b32_e32 v2, v25
.LBB20_53:                              ;   in Loop: Header=BB20_23 Depth=1
	s_or_b32 exec_lo, exec_lo, s31
	s_wait_dscnt 0x0
	s_barrier_signal -1
	s_barrier_wait -1
	ds_load_b32 v0, v15
	s_mov_b32 s3, exec_lo
	s_wait_dscnt 0x0
	v_cmpx_ne_u32_e32 0, v0
	s_cbranch_execz .LBB20_58
; %bb.54:                               ;   in Loop: Header=BB20_23 Depth=1
	v_add_nc_u32_e32 v0, s6, v21
	s_wait_kmcnt 0x0
	global_store_b32 v10, v0, s[12:13] scale_offset
	s_wait_xcnt 0x0
	s_and_b32 exec_lo, exec_lo, s0
	s_cbranch_execz .LBB20_58
; %bb.55:                               ;   in Loop: Header=BB20_23 Depth=1
	v_mul_lo_u32 v0, v10, s11
	s_and_b32 vcc_lo, exec_lo, s7
	s_cbranch_vccz .LBB20_62
; %bb.56:                               ;   in Loop: Header=BB20_23 Depth=1
	ds_load_b64 v[22:23], v17
	v_add_nc_u32_e32 v1, v0, v14
	s_delay_alu instid0(VALU_DEP_1)
	v_mad_u32 v1, v1, s11, v13
	s_wait_dscnt 0x0
	global_store_b64 v1, v[22:23], s[14:15] scale_offset
	s_cbranch_execnz .LBB20_58
.LBB20_57:                              ;   in Loop: Header=BB20_23 Depth=1
	s_wait_xcnt 0x0
	ds_load_b64 v[22:23], v18
	v_add_nc_u32_e32 v0, v0, v13
	s_delay_alu instid0(VALU_DEP_1)
	v_mad_u32 v0, v0, s11, v14
	s_wait_dscnt 0x0
	global_store_b64 v0, v[22:23], s[14:15] scale_offset
.LBB20_58:                              ;   in Loop: Header=BB20_23 Depth=1
	s_wait_xcnt 0x0
	s_or_b32 exec_lo, exec_lo, s3
	v_cmp_le_i32_e32 vcc_lo, s10, v5
	s_wait_storecnt 0x0
	s_barrier_signal -1
	s_barrier_wait -1
	v_cndmask_b32_e64 v0, 0, 1, vcc_lo
	s_barrier_signal -1
	s_barrier_wait -1
	ds_store_b32 v12, v0
	s_wait_dscnt 0x0
	s_barrier_signal -1
	s_barrier_wait -1
	s_and_saveexec_b32 s3, s1
	s_cbranch_execz .LBB20_60
; %bb.59:                               ;   in Loop: Header=BB20_23 Depth=1
	ds_load_2addr_b32 v[0:1], v19 offset1:2
	s_wait_dscnt 0x0
	v_add_nc_u32_e32 v0, v1, v0
	ds_store_b32 v19, v0
.LBB20_60:                              ;   in Loop: Header=BB20_23 Depth=1
	s_or_b32 exec_lo, exec_lo, s3
	s_wait_dscnt 0x0
	s_barrier_signal -1
	s_barrier_wait -1
	s_and_saveexec_b32 s3, s2
	s_cbranch_execz .LBB20_22
; %bb.61:                               ;   in Loop: Header=BB20_23 Depth=1
	ds_load_b64 v[0:1], v11 offset:512
	s_wait_dscnt 0x0
	v_add_nc_u32_e32 v0, v1, v0
	ds_store_b32 v11, v0 offset:512
	s_branch .LBB20_22
.LBB20_62:                              ;   in Loop: Header=BB20_23 Depth=1
	s_branch .LBB20_57
.LBB20_63:
	v_cndmask_b32_e64 v1, 0, 1, s7
	s_and_not1_b32 vcc_lo, exec_lo, s7
	s_mov_b32 s17, s9
	s_cbranch_vccnz .LBB20_2
.LBB20_64:
	s_load_b32 s17, s[8:9], 0x4
	v_cmp_ne_u32_e32 vcc_lo, 1, v1
	s_mov_b32 s18, s2
	s_cbranch_vccz .LBB20_3
	s_branch .LBB20_4
.LBB20_65:
	s_endpgm
	.section	.rodata,"a",@progbits
	.p2align	6, 0x0
	.amdhsa_kernel _ZN9rocsparseL35bsrgeam_wf_per_row_multipass_kernelILj64ELj4E21rocsparse_complex_numIfEEEv20rocsparse_direction_iiiNS_24const_host_device_scalarIT1_EEPKiS8_PKS5_S6_S8_S8_SA_S8_PiPS5_21rocsparse_index_base_SD_SD_b
		.amdhsa_group_segment_fixed_size 544
		.amdhsa_private_segment_fixed_size 0
		.amdhsa_kernarg_size 120
		.amdhsa_user_sgpr_count 2
		.amdhsa_user_sgpr_dispatch_ptr 0
		.amdhsa_user_sgpr_queue_ptr 0
		.amdhsa_user_sgpr_kernarg_segment_ptr 1
		.amdhsa_user_sgpr_dispatch_id 0
		.amdhsa_user_sgpr_kernarg_preload_length 0
		.amdhsa_user_sgpr_kernarg_preload_offset 0
		.amdhsa_user_sgpr_private_segment_size 0
		.amdhsa_wavefront_size32 1
		.amdhsa_uses_dynamic_stack 0
		.amdhsa_enable_private_segment 0
		.amdhsa_system_sgpr_workgroup_id_x 1
		.amdhsa_system_sgpr_workgroup_id_y 0
		.amdhsa_system_sgpr_workgroup_id_z 0
		.amdhsa_system_sgpr_workgroup_info 0
		.amdhsa_system_vgpr_workitem_id 0
		.amdhsa_next_free_vgpr 30
		.amdhsa_next_free_sgpr 36
		.amdhsa_named_barrier_count 0
		.amdhsa_reserve_vcc 1
		.amdhsa_float_round_mode_32 0
		.amdhsa_float_round_mode_16_64 0
		.amdhsa_float_denorm_mode_32 3
		.amdhsa_float_denorm_mode_16_64 3
		.amdhsa_fp16_overflow 0
		.amdhsa_memory_ordered 1
		.amdhsa_forward_progress 1
		.amdhsa_inst_pref_size 17
		.amdhsa_round_robin_scheduling 0
		.amdhsa_exception_fp_ieee_invalid_op 0
		.amdhsa_exception_fp_denorm_src 0
		.amdhsa_exception_fp_ieee_div_zero 0
		.amdhsa_exception_fp_ieee_overflow 0
		.amdhsa_exception_fp_ieee_underflow 0
		.amdhsa_exception_fp_ieee_inexact 0
		.amdhsa_exception_int_div_zero 0
	.end_amdhsa_kernel
	.section	.text._ZN9rocsparseL35bsrgeam_wf_per_row_multipass_kernelILj64ELj4E21rocsparse_complex_numIfEEEv20rocsparse_direction_iiiNS_24const_host_device_scalarIT1_EEPKiS8_PKS5_S6_S8_S8_SA_S8_PiPS5_21rocsparse_index_base_SD_SD_b,"axG",@progbits,_ZN9rocsparseL35bsrgeam_wf_per_row_multipass_kernelILj64ELj4E21rocsparse_complex_numIfEEEv20rocsparse_direction_iiiNS_24const_host_device_scalarIT1_EEPKiS8_PKS5_S6_S8_S8_SA_S8_PiPS5_21rocsparse_index_base_SD_SD_b,comdat
.Lfunc_end20:
	.size	_ZN9rocsparseL35bsrgeam_wf_per_row_multipass_kernelILj64ELj4E21rocsparse_complex_numIfEEEv20rocsparse_direction_iiiNS_24const_host_device_scalarIT1_EEPKiS8_PKS5_S6_S8_S8_SA_S8_PiPS5_21rocsparse_index_base_SD_SD_b, .Lfunc_end20-_ZN9rocsparseL35bsrgeam_wf_per_row_multipass_kernelILj64ELj4E21rocsparse_complex_numIfEEEv20rocsparse_direction_iiiNS_24const_host_device_scalarIT1_EEPKiS8_PKS5_S6_S8_S8_SA_S8_PiPS5_21rocsparse_index_base_SD_SD_b
                                        ; -- End function
	.set _ZN9rocsparseL35bsrgeam_wf_per_row_multipass_kernelILj64ELj4E21rocsparse_complex_numIfEEEv20rocsparse_direction_iiiNS_24const_host_device_scalarIT1_EEPKiS8_PKS5_S6_S8_S8_SA_S8_PiPS5_21rocsparse_index_base_SD_SD_b.num_vgpr, 30
	.set _ZN9rocsparseL35bsrgeam_wf_per_row_multipass_kernelILj64ELj4E21rocsparse_complex_numIfEEEv20rocsparse_direction_iiiNS_24const_host_device_scalarIT1_EEPKiS8_PKS5_S6_S8_S8_SA_S8_PiPS5_21rocsparse_index_base_SD_SD_b.num_agpr, 0
	.set _ZN9rocsparseL35bsrgeam_wf_per_row_multipass_kernelILj64ELj4E21rocsparse_complex_numIfEEEv20rocsparse_direction_iiiNS_24const_host_device_scalarIT1_EEPKiS8_PKS5_S6_S8_S8_SA_S8_PiPS5_21rocsparse_index_base_SD_SD_b.numbered_sgpr, 36
	.set _ZN9rocsparseL35bsrgeam_wf_per_row_multipass_kernelILj64ELj4E21rocsparse_complex_numIfEEEv20rocsparse_direction_iiiNS_24const_host_device_scalarIT1_EEPKiS8_PKS5_S6_S8_S8_SA_S8_PiPS5_21rocsparse_index_base_SD_SD_b.num_named_barrier, 0
	.set _ZN9rocsparseL35bsrgeam_wf_per_row_multipass_kernelILj64ELj4E21rocsparse_complex_numIfEEEv20rocsparse_direction_iiiNS_24const_host_device_scalarIT1_EEPKiS8_PKS5_S6_S8_S8_SA_S8_PiPS5_21rocsparse_index_base_SD_SD_b.private_seg_size, 0
	.set _ZN9rocsparseL35bsrgeam_wf_per_row_multipass_kernelILj64ELj4E21rocsparse_complex_numIfEEEv20rocsparse_direction_iiiNS_24const_host_device_scalarIT1_EEPKiS8_PKS5_S6_S8_S8_SA_S8_PiPS5_21rocsparse_index_base_SD_SD_b.uses_vcc, 1
	.set _ZN9rocsparseL35bsrgeam_wf_per_row_multipass_kernelILj64ELj4E21rocsparse_complex_numIfEEEv20rocsparse_direction_iiiNS_24const_host_device_scalarIT1_EEPKiS8_PKS5_S6_S8_S8_SA_S8_PiPS5_21rocsparse_index_base_SD_SD_b.uses_flat_scratch, 0
	.set _ZN9rocsparseL35bsrgeam_wf_per_row_multipass_kernelILj64ELj4E21rocsparse_complex_numIfEEEv20rocsparse_direction_iiiNS_24const_host_device_scalarIT1_EEPKiS8_PKS5_S6_S8_S8_SA_S8_PiPS5_21rocsparse_index_base_SD_SD_b.has_dyn_sized_stack, 0
	.set _ZN9rocsparseL35bsrgeam_wf_per_row_multipass_kernelILj64ELj4E21rocsparse_complex_numIfEEEv20rocsparse_direction_iiiNS_24const_host_device_scalarIT1_EEPKiS8_PKS5_S6_S8_S8_SA_S8_PiPS5_21rocsparse_index_base_SD_SD_b.has_recursion, 0
	.set _ZN9rocsparseL35bsrgeam_wf_per_row_multipass_kernelILj64ELj4E21rocsparse_complex_numIfEEEv20rocsparse_direction_iiiNS_24const_host_device_scalarIT1_EEPKiS8_PKS5_S6_S8_S8_SA_S8_PiPS5_21rocsparse_index_base_SD_SD_b.has_indirect_call, 0
	.section	.AMDGPU.csdata,"",@progbits
; Kernel info:
; codeLenInByte = 2112
; TotalNumSgprs: 38
; NumVgprs: 30
; ScratchSize: 0
; MemoryBound: 0
; FloatMode: 240
; IeeeMode: 1
; LDSByteSize: 544 bytes/workgroup (compile time only)
; SGPRBlocks: 0
; VGPRBlocks: 1
; NumSGPRsForWavesPerEU: 38
; NumVGPRsForWavesPerEU: 30
; NamedBarCnt: 0
; Occupancy: 16
; WaveLimiterHint : 0
; COMPUTE_PGM_RSRC2:SCRATCH_EN: 0
; COMPUTE_PGM_RSRC2:USER_SGPR: 2
; COMPUTE_PGM_RSRC2:TRAP_HANDLER: 0
; COMPUTE_PGM_RSRC2:TGID_X_EN: 1
; COMPUTE_PGM_RSRC2:TGID_Y_EN: 0
; COMPUTE_PGM_RSRC2:TGID_Z_EN: 0
; COMPUTE_PGM_RSRC2:TIDIG_COMP_CNT: 0
	.section	.text._ZN9rocsparseL35bsrgeam_wf_per_row_multipass_kernelILj64ELj8E21rocsparse_complex_numIfEEEv20rocsparse_direction_iiiNS_24const_host_device_scalarIT1_EEPKiS8_PKS5_S6_S8_S8_SA_S8_PiPS5_21rocsparse_index_base_SD_SD_b,"axG",@progbits,_ZN9rocsparseL35bsrgeam_wf_per_row_multipass_kernelILj64ELj8E21rocsparse_complex_numIfEEEv20rocsparse_direction_iiiNS_24const_host_device_scalarIT1_EEPKiS8_PKS5_S6_S8_S8_SA_S8_PiPS5_21rocsparse_index_base_SD_SD_b,comdat
	.globl	_ZN9rocsparseL35bsrgeam_wf_per_row_multipass_kernelILj64ELj8E21rocsparse_complex_numIfEEEv20rocsparse_direction_iiiNS_24const_host_device_scalarIT1_EEPKiS8_PKS5_S6_S8_S8_SA_S8_PiPS5_21rocsparse_index_base_SD_SD_b ; -- Begin function _ZN9rocsparseL35bsrgeam_wf_per_row_multipass_kernelILj64ELj8E21rocsparse_complex_numIfEEEv20rocsparse_direction_iiiNS_24const_host_device_scalarIT1_EEPKiS8_PKS5_S6_S8_S8_SA_S8_PiPS5_21rocsparse_index_base_SD_SD_b
	.p2align	8
	.type	_ZN9rocsparseL35bsrgeam_wf_per_row_multipass_kernelILj64ELj8E21rocsparse_complex_numIfEEEv20rocsparse_direction_iiiNS_24const_host_device_scalarIT1_EEPKiS8_PKS5_S6_S8_S8_SA_S8_PiPS5_21rocsparse_index_base_SD_SD_b,@function
_ZN9rocsparseL35bsrgeam_wf_per_row_multipass_kernelILj64ELj8E21rocsparse_complex_numIfEEEv20rocsparse_direction_iiiNS_24const_host_device_scalarIT1_EEPKiS8_PKS5_S6_S8_S8_SA_S8_PiPS5_21rocsparse_index_base_SD_SD_b: ; @_ZN9rocsparseL35bsrgeam_wf_per_row_multipass_kernelILj64ELj8E21rocsparse_complex_numIfEEEv20rocsparse_direction_iiiNS_24const_host_device_scalarIT1_EEPKiS8_PKS5_S6_S8_S8_SA_S8_PiPS5_21rocsparse_index_base_SD_SD_b
; %bb.0:
	s_clause 0x2
	s_load_b128 s[4:7], s[0:1], 0x68
	s_load_b64 s[10:11], s[0:1], 0x10
	s_load_b64 s[8:9], s[0:1], 0x30
	s_wait_kmcnt 0x0
	s_bitcmp1_b32 s7, 0
	s_cselect_b32 s2, -1, 0
	s_delay_alu instid0(SALU_CYCLE_1)
	s_xor_b32 s3, s2, -1
	s_and_b32 vcc_lo, exec_lo, s2
	s_mov_b32 s2, s10
	s_cbranch_vccnz .LBB21_22
; %bb.1:
	s_load_b32 s2, s[10:11], 0x0
	v_cndmask_b32_e64 v1, 0, 1, s3
	s_and_not1_b32 vcc_lo, exec_lo, s3
	s_mov_b32 s3, s11
	s_cbranch_vccz .LBB21_23
.LBB21_2:
	s_delay_alu instid0(VALU_DEP_1)
	v_cmp_ne_u32_e32 vcc_lo, 1, v1
	s_mov_b32 s16, s8
	s_cbranch_vccnz .LBB21_4
.LBB21_3:
	s_load_b32 s16, s[8:9], 0x0
.LBB21_4:
	s_load_b64 s[12:13], s[0:1], 0x18
	v_cmp_ne_u32_e32 vcc_lo, 1, v1
	s_mov_b32 s17, s9
	s_cbranch_vccnz .LBB21_6
; %bb.5:
	s_load_b32 s17, s[8:9], 0x4
.LBB21_6:
	s_wait_xcnt 0x0
	s_load_b128 s[8:11], s[0:1], 0x0
	s_bfe_u32 s7, ttmp6, 0x4000c
	s_and_b32 s14, ttmp6, 15
	s_add_co_i32 s7, s7, 1
	s_getreg_b32 s15, hwreg(HW_REG_IB_STS2, 6, 4)
	s_mul_i32 s7, ttmp9, s7
	v_dual_mov_b32 v2, 0 :: v_dual_mov_b32 v4, 0
	s_add_co_i32 s14, s14, s7
	s_cmp_eq_u32 s15, 0
	s_cselect_b32 s14, ttmp9, s14
	s_delay_alu instid0(SALU_CYCLE_1)
	v_mov_b32_e32 v1, s14
	s_wait_kmcnt 0x0
	s_cmp_ge_i32 s14, s9
	s_cselect_b32 s7, -1, 0
	s_cmp_lt_i32 s14, s9
	s_cselect_b32 s9, -1, 0
	s_delay_alu instid0(SALU_CYCLE_1)
	s_and_saveexec_b32 s14, s9
	s_cbranch_execz .LBB21_8
; %bb.7:
	global_load_b32 v3, v1, s[12:13] scale_offset
	s_wait_loadcnt 0x0
	v_subrev_nc_u32_e32 v4, s4, v3
.LBB21_8:
	s_or_b32 exec_lo, exec_lo, s14
	s_load_b64 s[14:15], s[0:1], 0x38
	v_mov_b32_e32 v8, 0
	s_and_saveexec_b32 s18, s9
	s_cbranch_execz .LBB21_10
; %bb.9:
	global_load_b32 v3, v1, s[12:13] offset:4 scale_offset
	s_wait_loadcnt 0x0
	v_subrev_nc_u32_e32 v8, s4, v3
.LBB21_10:
	s_or_b32 exec_lo, exec_lo, s18
	s_and_saveexec_b32 s12, s9
	s_cbranch_execz .LBB21_12
; %bb.11:
	s_wait_kmcnt 0x0
	global_load_b32 v2, v1, s[14:15] scale_offset
	s_wait_loadcnt 0x0
	v_subrev_nc_u32_e32 v2, s5, v2
.LBB21_12:
	s_or_b32 exec_lo, exec_lo, s12
	v_dual_mov_b32 v10, 0 :: v_dual_mov_b32 v9, 0
	s_and_saveexec_b32 s12, s9
	s_cbranch_execz .LBB21_14
; %bb.13:
	s_wait_kmcnt 0x0
	global_load_b32 v3, v1, s[14:15] offset:4 scale_offset
	s_wait_loadcnt 0x0
	v_subrev_nc_u32_e32 v9, s5, v3
.LBB21_14:
	s_or_b32 exec_lo, exec_lo, s12
	s_and_saveexec_b32 s12, s9
	s_cbranch_execz .LBB21_16
; %bb.15:
	s_wait_kmcnt 0x0
	s_load_b64 s[14:15], s[0:1], 0x50
	s_wait_kmcnt 0x0
	global_load_b32 v1, v1, s[14:15] scale_offset
	s_wait_loadcnt 0x0
	v_subrev_nc_u32_e32 v10, s6, v1
.LBB21_16:
	s_or_b32 exec_lo, exec_lo, s12
	s_load_b64 s[18:19], s[0:1], 0x20
	v_mov_b32_e32 v1, s10
	s_mov_b32 s9, exec_lo
	v_cmpx_lt_i32_e64 v4, v8
	s_cbranch_execz .LBB21_18
; %bb.17:
	s_wait_kmcnt 0x0
	global_load_b32 v1, v4, s[18:19] scale_offset
	s_wait_loadcnt 0x0
	v_subrev_nc_u32_e32 v1, s4, v1
.LBB21_18:
	s_or_b32 exec_lo, exec_lo, s9
	s_load_b64 s[20:21], s[0:1], 0x40
	v_mov_b32_e32 v3, s10
	s_mov_b32 s9, exec_lo
	v_cmpx_lt_i32_e64 v2, v9
	s_cbranch_execz .LBB21_20
; %bb.19:
	s_wait_kmcnt 0x0
	global_load_b32 v3, v2, s[20:21] scale_offset
	s_wait_loadcnt 0x0
	v_subrev_nc_u32_e32 v3, s5, v3
.LBB21_20:
	s_or_b32 exec_lo, exec_lo, s9
	v_cndmask_b32_e64 v5, 0, 1, s7
	v_mov_b32_e32 v11, 0
	ds_store_b32 v11, v5 offset:512
	s_wait_dscnt 0x0
	s_barrier_signal -1
	s_barrier_wait -1
	ds_load_b32 v5, v11 offset:512
	s_wait_dscnt 0x0
	v_cmp_ne_u32_e32 vcc_lo, 0, v5
	s_cbranch_vccz .LBB21_24
.LBB21_21:
	s_endpgm
.LBB21_22:
	v_cndmask_b32_e64 v1, 0, 1, s3
	s_and_not1_b32 vcc_lo, exec_lo, s3
	s_mov_b32 s3, s11
	s_cbranch_vccnz .LBB21_2
.LBB21_23:
	s_load_b32 s3, s[10:11], 0x4
	v_cmp_ne_u32_e32 vcc_lo, 1, v1
	s_mov_b32 s16, s8
	s_cbranch_vccz .LBB21_3
	s_branch .LBB21_4
.LBB21_24:
	s_wait_kmcnt 0x0
	s_clause 0x2
	s_load_b128 s[12:15], s[0:1], 0x58
	s_load_b64 s[22:23], s[0:1], 0x28
	s_load_b64 s[24:25], s[0:1], 0x48
	v_dual_lshrrev_b32 v13, 3, v0 :: v_dual_bitop2_b32 v12, 7, v0 bitop3:0x40
	v_dual_mov_b32 v14, 0x200 :: v_dual_min_i32 v5, v3, v1
	v_dual_mov_b32 v15, 0x204 :: v_dual_lshlrev_b32 v16, 3, v0
	s_delay_alu instid0(VALU_DEP_3) | instskip(SKIP_3) | instid1(VALU_DEP_2)
	v_dual_lshlrev_b32 v3, 3, v12 :: v_dual_max_i32 v1, v13, v12
	v_dual_mov_b32 v19, 1 :: v_dual_bitop2_b32 v0, 56, v0 bitop3:0x40
	s_cmp_lg_u32 s8, 0
	s_wait_xcnt 0x0
	v_cmp_gt_i32_e64 s0, s11, v1
	v_lshl_or_b32 v17, v13, 6, v3
	v_lshl_or_b32 v18, v12, 6, v0
	v_mov_b64_e32 v[0:1], 0
	s_cselect_b32 s7, -1, 0
	s_xor_b32 s8, s3, 0x80000000
	s_xor_b32 s26, s17, 0x80000000
	s_mov_b32 s9, s2
	s_mov_b32 s27, s16
	s_mul_i32 s28, s11, s11
	s_branch .LBB21_27
.LBB21_25:                              ;   in Loop: Header=BB21_27 Depth=1
	s_wait_xcnt 0x0
	ds_load_b64 v[6:7], v18
	v_add_nc_u32_e32 v3, v3, v12
	s_delay_alu instid0(VALU_DEP_1)
	v_mad_u32 v3, v3, s11, v13
	s_wait_dscnt 0x0
	global_store_b64 v3, v[6:7], s[14:15] scale_offset
.LBB21_26:                              ;   in Loop: Header=BB21_27 Depth=1
	s_wait_xcnt 0x0
	s_or_b32 exec_lo, exec_lo, s1
	v_cmp_le_i32_e32 vcc_lo, s10, v5
	s_wait_storecnt 0x0
	s_barrier_signal -1
	s_barrier_wait -1
	v_cndmask_b32_e64 v3, 0, 1, vcc_lo
	s_barrier_signal -1
	s_barrier_wait -1
	ds_store_b32 v14, v3
	s_wait_dscnt 0x0
	s_barrier_signal -1
	s_barrier_wait -1
	ds_load_b32 v3, v11 offset:512
	v_add_nc_u32_e32 v10, 1, v10
	s_wait_dscnt 0x0
	v_cmp_eq_u32_e32 vcc_lo, 0, v3
	s_cbranch_vccz .LBB21_21
.LBB21_27:                              ; =>This Loop Header: Depth=1
                                        ;     Child Loop BB21_30 Depth 2
                                        ;     Child Loop BB21_45 Depth 2
	v_dual_mov_b32 v20, v5 :: v_dual_mov_b32 v5, s10
	s_mov_b32 s29, exec_lo
	ds_store_b32 v15, v11
	ds_store_b64 v16, v[0:1]
	s_wait_dscnt 0x0
	s_barrier_signal -1
	s_barrier_wait -1
	v_cmpx_lt_i32_e64 v4, v8
	s_cbranch_execz .LBB21_42
; %bb.28:                               ;   in Loop: Header=BB21_27 Depth=1
	v_mul_lo_u32 v3, s11, v4
	v_dual_mov_b32 v22, 0 :: v_dual_ashrrev_i32 v5, 31, v4
	s_mov_b32 s30, 0
	s_delay_alu instid0(VALU_DEP_2) | instskip(NEXT) | instid1(VALU_DEP_1)
	v_dual_add_nc_u32 v6, v12, v3 :: v_dual_add_nc_u32 v7, v13, v3
	v_mad_u32 v3, s11, v6, v13
	s_delay_alu instid0(VALU_DEP_2)
	v_mad_u32 v21, s11, v7, v12
	v_lshl_add_u64 v[6:7], v[4:5], 2, s[18:19]
	v_mov_b32_e32 v5, s10
	s_branch .LBB21_30
.LBB21_29:                              ;   in Loop: Header=BB21_30 Depth=2
	s_or_b32 exec_lo, exec_lo, s33
	v_dual_mov_b32 v24, v4 :: v_dual_mov_b32 v4, v23
	s_and_b32 s1, exec_lo, s31
	s_delay_alu instid0(SALU_CYCLE_1) | instskip(NEXT) | instid1(SALU_CYCLE_1)
	s_or_b32 s30, s1, s30
	s_and_not1_b32 exec_lo, exec_lo, s30
	s_cbranch_execz .LBB21_41
.LBB21_30:                              ;   Parent Loop BB21_27 Depth=1
                                        ; =>  This Inner Loop Header: Depth=2
	global_load_b32 v23, v[6:7], off
	s_wait_loadcnt 0x0
	v_subrev_nc_u32_e32 v23, s4, v23
	s_delay_alu instid0(VALU_DEP_1) | instskip(SKIP_2) | instid1(SALU_CYCLE_1)
	v_cmp_le_i32_e64 s1, v23, v20
	s_wait_xcnt 0x0
	s_and_saveexec_b32 s31, s1
	s_xor_b32 s31, exec_lo, s31
	s_cbranch_execz .LBB21_36
; %bb.31:                               ;   in Loop: Header=BB21_30 Depth=2
	ds_store_b32 v15, v19
	s_and_saveexec_b32 s33, s0
	s_cbranch_execz .LBB21_35
; %bb.32:                               ;   in Loop: Header=BB21_30 Depth=2
	s_and_b32 vcc_lo, exec_lo, s7
	s_cbranch_vccz .LBB21_40
; %bb.33:                               ;   in Loop: Header=BB21_30 Depth=2
	v_add_nc_u32_e32 v23, v21, v22
	v_mov_b64_e32 v[26:27], s[8:9]
	v_mov_b64_e32 v[28:29], s[2:3]
	s_wait_kmcnt 0x0
	global_load_b64 v[24:25], v23, s[22:23] scale_offset
	s_wait_loadcnt 0x0
	v_pk_mul_f32 v[26:27], v[24:25], v[26:27] op_sel:[1,0]
	s_delay_alu instid0(VALU_DEP_1)
	v_pk_fma_f32 v[24:25], v[28:29], v[24:25], v[26:27] op_sel_hi:[1,0,1]
	ds_store_b64 v17, v[24:25]
	s_cbranch_execnz .LBB21_35
.LBB21_34:                              ;   in Loop: Header=BB21_30 Depth=2
	s_wait_xcnt 0x0
	v_add_nc_u32_e32 v23, v3, v22
	v_mov_b64_e32 v[26:27], s[8:9]
	v_mov_b64_e32 v[28:29], s[2:3]
	s_wait_kmcnt 0x0
	global_load_b64 v[24:25], v23, s[22:23] scale_offset
	s_wait_loadcnt 0x0
	v_pk_mul_f32 v[26:27], v[24:25], v[26:27] op_sel:[1,0]
	s_delay_alu instid0(VALU_DEP_1)
	v_pk_fma_f32 v[24:25], v[28:29], v[24:25], v[26:27] op_sel_hi:[1,0,1]
	ds_store_b64 v18, v[24:25]
.LBB21_35:                              ;   in Loop: Header=BB21_30 Depth=2
	s_wait_xcnt 0x0
	s_or_b32 exec_lo, exec_lo, s33
                                        ; implicit-def: $vgpr23
	s_and_not1_saveexec_b32 s31, s31
	s_branch .LBB21_37
.LBB21_36:                              ;   in Loop: Header=BB21_30 Depth=2
	s_and_not1_saveexec_b32 s31, s31
.LBB21_37:                              ;   in Loop: Header=BB21_30 Depth=2
	v_min_i32_e32 v5, v23, v5
; %bb.38:                               ;   in Loop: Header=BB21_30 Depth=2
	s_or_b32 exec_lo, exec_lo, s31
	s_mov_b32 s31, -1
                                        ; implicit-def: $vgpr23
	s_and_saveexec_b32 s33, s1
	s_cbranch_execz .LBB21_29
; %bb.39:                               ;   in Loop: Header=BB21_30 Depth=2
	v_dual_add_nc_u32 v23, 1, v4 :: v_dual_add_nc_u32 v22, s28, v22
	v_add_nc_u64_e32 v[6:7], 4, v[6:7]
	v_mov_b32_e32 v4, v8
	s_delay_alu instid0(VALU_DEP_3)
	v_cmp_ge_i32_e32 vcc_lo, v23, v8
	s_or_not1_b32 s31, vcc_lo, exec_lo
	s_branch .LBB21_29
.LBB21_40:                              ;   in Loop: Header=BB21_30 Depth=2
	s_branch .LBB21_34
.LBB21_41:                              ;   in Loop: Header=BB21_27 Depth=1
	s_or_b32 exec_lo, exec_lo, s30
	v_mov_b32_e32 v4, v24
.LBB21_42:                              ;   in Loop: Header=BB21_27 Depth=1
	s_or_b32 exec_lo, exec_lo, s29
	s_delay_alu instid0(SALU_CYCLE_1)
	s_mov_b32 s29, exec_lo
	s_wait_dscnt 0x0
	s_barrier_signal -1
	s_barrier_wait -1
	v_cmpx_lt_i32_e64 v2, v9
	s_cbranch_execz .LBB21_57
; %bb.43:                               ;   in Loop: Header=BB21_27 Depth=1
	v_mul_lo_u32 v3, s11, v2
	s_mov_b32 s30, 0
	s_delay_alu instid0(VALU_DEP_1) | instskip(NEXT) | instid1(VALU_DEP_1)
	v_dual_add_nc_u32 v6, v12, v3 :: v_dual_add_nc_u32 v3, v13, v3
	v_mad_u32 v21, s11, v6, v13
	s_delay_alu instid0(VALU_DEP_2) | instskip(SKIP_1) | instid1(VALU_DEP_1)
	v_mad_u32 v22, s11, v3, v12
	v_ashrrev_i32_e32 v3, 31, v2
	v_lshl_add_u64 v[6:7], v[2:3], 2, s[20:21]
	v_mov_b32_e32 v3, 0
	s_branch .LBB21_45
.LBB21_44:                              ;   in Loop: Header=BB21_45 Depth=2
	s_or_b32 exec_lo, exec_lo, s33
	v_dual_mov_b32 v24, v2 :: v_dual_mov_b32 v2, v23
	s_and_b32 s1, exec_lo, s31
	s_delay_alu instid0(SALU_CYCLE_1) | instskip(NEXT) | instid1(SALU_CYCLE_1)
	s_or_b32 s30, s1, s30
	s_and_not1_b32 exec_lo, exec_lo, s30
	s_cbranch_execz .LBB21_56
.LBB21_45:                              ;   Parent Loop BB21_27 Depth=1
                                        ; =>  This Inner Loop Header: Depth=2
	global_load_b32 v23, v[6:7], off
	s_wait_loadcnt 0x0
	v_subrev_nc_u32_e32 v23, s5, v23
	s_delay_alu instid0(VALU_DEP_1) | instskip(SKIP_2) | instid1(SALU_CYCLE_1)
	v_cmp_le_i32_e64 s1, v23, v20
	s_wait_xcnt 0x0
	s_and_saveexec_b32 s31, s1
	s_xor_b32 s31, exec_lo, s31
	s_cbranch_execz .LBB21_51
; %bb.46:                               ;   in Loop: Header=BB21_45 Depth=2
	ds_store_b32 v15, v19
	s_and_saveexec_b32 s33, s0
	s_cbranch_execz .LBB21_50
; %bb.47:                               ;   in Loop: Header=BB21_45 Depth=2
	s_and_b32 vcc_lo, exec_lo, s7
	s_cbranch_vccz .LBB21_55
; %bb.48:                               ;   in Loop: Header=BB21_45 Depth=2
	v_add_nc_u32_e32 v23, v22, v3
	ds_load_b64 v[26:27], v17
	v_mov_b64_e32 v[28:29], s[16:17]
	s_wait_kmcnt 0x0
	global_load_b64 v[24:25], v23, s[24:25] scale_offset
	s_wait_loadcnt_dscnt 0x0
	v_pk_fma_f32 v[26:27], v[28:29], v[24:25], v[26:27] op_sel_hi:[1,0,1]
	v_mov_b64_e32 v[28:29], s[26:27]
	s_delay_alu instid0(VALU_DEP_1)
	v_pk_fma_f32 v[24:25], v[28:29], v[24:25], v[26:27] op_sel:[0,1,0]
	ds_store_b64 v17, v[24:25]
	s_cbranch_execnz .LBB21_50
.LBB21_49:                              ;   in Loop: Header=BB21_45 Depth=2
	s_wait_xcnt 0x0
	v_add_nc_u32_e32 v23, v21, v3
	ds_load_b64 v[26:27], v18
	v_mov_b64_e32 v[28:29], s[16:17]
	s_wait_kmcnt 0x0
	global_load_b64 v[24:25], v23, s[24:25] scale_offset
	s_wait_loadcnt_dscnt 0x0
	v_pk_fma_f32 v[26:27], v[28:29], v[24:25], v[26:27] op_sel_hi:[1,0,1]
	v_mov_b64_e32 v[28:29], s[26:27]
	s_delay_alu instid0(VALU_DEP_1)
	v_pk_fma_f32 v[24:25], v[28:29], v[24:25], v[26:27] op_sel:[0,1,0]
	ds_store_b64 v18, v[24:25]
.LBB21_50:                              ;   in Loop: Header=BB21_45 Depth=2
	s_wait_xcnt 0x0
	s_or_b32 exec_lo, exec_lo, s33
                                        ; implicit-def: $vgpr23
	s_and_not1_saveexec_b32 s31, s31
	s_branch .LBB21_52
.LBB21_51:                              ;   in Loop: Header=BB21_45 Depth=2
	s_and_not1_saveexec_b32 s31, s31
.LBB21_52:                              ;   in Loop: Header=BB21_45 Depth=2
	v_min_i32_e32 v5, v23, v5
; %bb.53:                               ;   in Loop: Header=BB21_45 Depth=2
	s_or_b32 exec_lo, exec_lo, s31
	s_mov_b32 s31, -1
                                        ; implicit-def: $vgpr23
	s_and_saveexec_b32 s33, s1
	s_cbranch_execz .LBB21_44
; %bb.54:                               ;   in Loop: Header=BB21_45 Depth=2
	v_dual_add_nc_u32 v23, 1, v2 :: v_dual_add_nc_u32 v3, s28, v3
	v_add_nc_u64_e32 v[6:7], 4, v[6:7]
	v_mov_b32_e32 v2, v9
	s_delay_alu instid0(VALU_DEP_3)
	v_cmp_ge_i32_e32 vcc_lo, v23, v9
	s_or_not1_b32 s31, vcc_lo, exec_lo
	s_branch .LBB21_44
.LBB21_55:                              ;   in Loop: Header=BB21_45 Depth=2
	s_branch .LBB21_49
.LBB21_56:                              ;   in Loop: Header=BB21_27 Depth=1
	s_or_b32 exec_lo, exec_lo, s30
	v_mov_b32_e32 v2, v24
.LBB21_57:                              ;   in Loop: Header=BB21_27 Depth=1
	s_or_b32 exec_lo, exec_lo, s29
	s_wait_dscnt 0x0
	s_barrier_signal -1
	s_barrier_wait -1
	ds_load_b32 v3, v15
	s_mov_b32 s1, exec_lo
	s_wait_dscnt 0x0
	v_cmpx_ne_u32_e32 0, v3
	s_cbranch_execz .LBB21_26
; %bb.58:                               ;   in Loop: Header=BB21_27 Depth=1
	v_add_nc_u32_e32 v3, s6, v20
	s_wait_kmcnt 0x0
	global_store_b32 v10, v3, s[12:13] scale_offset
	s_wait_xcnt 0x0
	s_and_b32 exec_lo, exec_lo, s0
	s_cbranch_execz .LBB21_26
; %bb.59:                               ;   in Loop: Header=BB21_27 Depth=1
	v_mul_lo_u32 v3, v10, s11
	s_and_b32 vcc_lo, exec_lo, s7
	s_cbranch_vccz .LBB21_61
; %bb.60:                               ;   in Loop: Header=BB21_27 Depth=1
	ds_load_b64 v[6:7], v17
	v_add_nc_u32_e32 v20, v3, v13
	s_delay_alu instid0(VALU_DEP_1)
	v_mad_u32 v20, v20, s11, v12
	s_wait_dscnt 0x0
	global_store_b64 v20, v[6:7], s[14:15] scale_offset
	s_cbranch_execnz .LBB21_26
	s_branch .LBB21_25
.LBB21_61:                              ;   in Loop: Header=BB21_27 Depth=1
	s_branch .LBB21_25
	.section	.rodata,"a",@progbits
	.p2align	6, 0x0
	.amdhsa_kernel _ZN9rocsparseL35bsrgeam_wf_per_row_multipass_kernelILj64ELj8E21rocsparse_complex_numIfEEEv20rocsparse_direction_iiiNS_24const_host_device_scalarIT1_EEPKiS8_PKS5_S6_S8_S8_SA_S8_PiPS5_21rocsparse_index_base_SD_SD_b
		.amdhsa_group_segment_fixed_size 520
		.amdhsa_private_segment_fixed_size 0
		.amdhsa_kernarg_size 120
		.amdhsa_user_sgpr_count 2
		.amdhsa_user_sgpr_dispatch_ptr 0
		.amdhsa_user_sgpr_queue_ptr 0
		.amdhsa_user_sgpr_kernarg_segment_ptr 1
		.amdhsa_user_sgpr_dispatch_id 0
		.amdhsa_user_sgpr_kernarg_preload_length 0
		.amdhsa_user_sgpr_kernarg_preload_offset 0
		.amdhsa_user_sgpr_private_segment_size 0
		.amdhsa_wavefront_size32 1
		.amdhsa_uses_dynamic_stack 0
		.amdhsa_enable_private_segment 0
		.amdhsa_system_sgpr_workgroup_id_x 1
		.amdhsa_system_sgpr_workgroup_id_y 0
		.amdhsa_system_sgpr_workgroup_id_z 0
		.amdhsa_system_sgpr_workgroup_info 0
		.amdhsa_system_vgpr_workitem_id 0
		.amdhsa_next_free_vgpr 30
		.amdhsa_next_free_sgpr 34
		.amdhsa_named_barrier_count 0
		.amdhsa_reserve_vcc 1
		.amdhsa_float_round_mode_32 0
		.amdhsa_float_round_mode_16_64 0
		.amdhsa_float_denorm_mode_32 3
		.amdhsa_float_denorm_mode_16_64 3
		.amdhsa_fp16_overflow 0
		.amdhsa_memory_ordered 1
		.amdhsa_forward_progress 1
		.amdhsa_inst_pref_size 16
		.amdhsa_round_robin_scheduling 0
		.amdhsa_exception_fp_ieee_invalid_op 0
		.amdhsa_exception_fp_denorm_src 0
		.amdhsa_exception_fp_ieee_div_zero 0
		.amdhsa_exception_fp_ieee_overflow 0
		.amdhsa_exception_fp_ieee_underflow 0
		.amdhsa_exception_fp_ieee_inexact 0
		.amdhsa_exception_int_div_zero 0
	.end_amdhsa_kernel
	.section	.text._ZN9rocsparseL35bsrgeam_wf_per_row_multipass_kernelILj64ELj8E21rocsparse_complex_numIfEEEv20rocsparse_direction_iiiNS_24const_host_device_scalarIT1_EEPKiS8_PKS5_S6_S8_S8_SA_S8_PiPS5_21rocsparse_index_base_SD_SD_b,"axG",@progbits,_ZN9rocsparseL35bsrgeam_wf_per_row_multipass_kernelILj64ELj8E21rocsparse_complex_numIfEEEv20rocsparse_direction_iiiNS_24const_host_device_scalarIT1_EEPKiS8_PKS5_S6_S8_S8_SA_S8_PiPS5_21rocsparse_index_base_SD_SD_b,comdat
.Lfunc_end21:
	.size	_ZN9rocsparseL35bsrgeam_wf_per_row_multipass_kernelILj64ELj8E21rocsparse_complex_numIfEEEv20rocsparse_direction_iiiNS_24const_host_device_scalarIT1_EEPKiS8_PKS5_S6_S8_S8_SA_S8_PiPS5_21rocsparse_index_base_SD_SD_b, .Lfunc_end21-_ZN9rocsparseL35bsrgeam_wf_per_row_multipass_kernelILj64ELj8E21rocsparse_complex_numIfEEEv20rocsparse_direction_iiiNS_24const_host_device_scalarIT1_EEPKiS8_PKS5_S6_S8_S8_SA_S8_PiPS5_21rocsparse_index_base_SD_SD_b
                                        ; -- End function
	.set _ZN9rocsparseL35bsrgeam_wf_per_row_multipass_kernelILj64ELj8E21rocsparse_complex_numIfEEEv20rocsparse_direction_iiiNS_24const_host_device_scalarIT1_EEPKiS8_PKS5_S6_S8_S8_SA_S8_PiPS5_21rocsparse_index_base_SD_SD_b.num_vgpr, 30
	.set _ZN9rocsparseL35bsrgeam_wf_per_row_multipass_kernelILj64ELj8E21rocsparse_complex_numIfEEEv20rocsparse_direction_iiiNS_24const_host_device_scalarIT1_EEPKiS8_PKS5_S6_S8_S8_SA_S8_PiPS5_21rocsparse_index_base_SD_SD_b.num_agpr, 0
	.set _ZN9rocsparseL35bsrgeam_wf_per_row_multipass_kernelILj64ELj8E21rocsparse_complex_numIfEEEv20rocsparse_direction_iiiNS_24const_host_device_scalarIT1_EEPKiS8_PKS5_S6_S8_S8_SA_S8_PiPS5_21rocsparse_index_base_SD_SD_b.numbered_sgpr, 34
	.set _ZN9rocsparseL35bsrgeam_wf_per_row_multipass_kernelILj64ELj8E21rocsparse_complex_numIfEEEv20rocsparse_direction_iiiNS_24const_host_device_scalarIT1_EEPKiS8_PKS5_S6_S8_S8_SA_S8_PiPS5_21rocsparse_index_base_SD_SD_b.num_named_barrier, 0
	.set _ZN9rocsparseL35bsrgeam_wf_per_row_multipass_kernelILj64ELj8E21rocsparse_complex_numIfEEEv20rocsparse_direction_iiiNS_24const_host_device_scalarIT1_EEPKiS8_PKS5_S6_S8_S8_SA_S8_PiPS5_21rocsparse_index_base_SD_SD_b.private_seg_size, 0
	.set _ZN9rocsparseL35bsrgeam_wf_per_row_multipass_kernelILj64ELj8E21rocsparse_complex_numIfEEEv20rocsparse_direction_iiiNS_24const_host_device_scalarIT1_EEPKiS8_PKS5_S6_S8_S8_SA_S8_PiPS5_21rocsparse_index_base_SD_SD_b.uses_vcc, 1
	.set _ZN9rocsparseL35bsrgeam_wf_per_row_multipass_kernelILj64ELj8E21rocsparse_complex_numIfEEEv20rocsparse_direction_iiiNS_24const_host_device_scalarIT1_EEPKiS8_PKS5_S6_S8_S8_SA_S8_PiPS5_21rocsparse_index_base_SD_SD_b.uses_flat_scratch, 0
	.set _ZN9rocsparseL35bsrgeam_wf_per_row_multipass_kernelILj64ELj8E21rocsparse_complex_numIfEEEv20rocsparse_direction_iiiNS_24const_host_device_scalarIT1_EEPKiS8_PKS5_S6_S8_S8_SA_S8_PiPS5_21rocsparse_index_base_SD_SD_b.has_dyn_sized_stack, 0
	.set _ZN9rocsparseL35bsrgeam_wf_per_row_multipass_kernelILj64ELj8E21rocsparse_complex_numIfEEEv20rocsparse_direction_iiiNS_24const_host_device_scalarIT1_EEPKiS8_PKS5_S6_S8_S8_SA_S8_PiPS5_21rocsparse_index_base_SD_SD_b.has_recursion, 0
	.set _ZN9rocsparseL35bsrgeam_wf_per_row_multipass_kernelILj64ELj8E21rocsparse_complex_numIfEEEv20rocsparse_direction_iiiNS_24const_host_device_scalarIT1_EEPKiS8_PKS5_S6_S8_S8_SA_S8_PiPS5_21rocsparse_index_base_SD_SD_b.has_indirect_call, 0
	.section	.AMDGPU.csdata,"",@progbits
; Kernel info:
; codeLenInByte = 1976
; TotalNumSgprs: 36
; NumVgprs: 30
; ScratchSize: 0
; MemoryBound: 0
; FloatMode: 240
; IeeeMode: 1
; LDSByteSize: 520 bytes/workgroup (compile time only)
; SGPRBlocks: 0
; VGPRBlocks: 1
; NumSGPRsForWavesPerEU: 36
; NumVGPRsForWavesPerEU: 30
; NamedBarCnt: 0
; Occupancy: 16
; WaveLimiterHint : 0
; COMPUTE_PGM_RSRC2:SCRATCH_EN: 0
; COMPUTE_PGM_RSRC2:USER_SGPR: 2
; COMPUTE_PGM_RSRC2:TRAP_HANDLER: 0
; COMPUTE_PGM_RSRC2:TGID_X_EN: 1
; COMPUTE_PGM_RSRC2:TGID_Y_EN: 0
; COMPUTE_PGM_RSRC2:TGID_Z_EN: 0
; COMPUTE_PGM_RSRC2:TIDIG_COMP_CNT: 0
	.section	.text._ZN9rocsparseL39bsrgeam_block_per_row_multipass_kernel2ILj256ELj16E21rocsparse_complex_numIfEEEv20rocsparse_direction_iiiNS_24const_host_device_scalarIT1_EEPKiS8_PKS5_S6_S8_S8_SA_S8_PiPS5_21rocsparse_index_base_SD_SD_b,"axG",@progbits,_ZN9rocsparseL39bsrgeam_block_per_row_multipass_kernel2ILj256ELj16E21rocsparse_complex_numIfEEEv20rocsparse_direction_iiiNS_24const_host_device_scalarIT1_EEPKiS8_PKS5_S6_S8_S8_SA_S8_PiPS5_21rocsparse_index_base_SD_SD_b,comdat
	.globl	_ZN9rocsparseL39bsrgeam_block_per_row_multipass_kernel2ILj256ELj16E21rocsparse_complex_numIfEEEv20rocsparse_direction_iiiNS_24const_host_device_scalarIT1_EEPKiS8_PKS5_S6_S8_S8_SA_S8_PiPS5_21rocsparse_index_base_SD_SD_b ; -- Begin function _ZN9rocsparseL39bsrgeam_block_per_row_multipass_kernel2ILj256ELj16E21rocsparse_complex_numIfEEEv20rocsparse_direction_iiiNS_24const_host_device_scalarIT1_EEPKiS8_PKS5_S6_S8_S8_SA_S8_PiPS5_21rocsparse_index_base_SD_SD_b
	.p2align	8
	.type	_ZN9rocsparseL39bsrgeam_block_per_row_multipass_kernel2ILj256ELj16E21rocsparse_complex_numIfEEEv20rocsparse_direction_iiiNS_24const_host_device_scalarIT1_EEPKiS8_PKS5_S6_S8_S8_SA_S8_PiPS5_21rocsparse_index_base_SD_SD_b,@function
_ZN9rocsparseL39bsrgeam_block_per_row_multipass_kernel2ILj256ELj16E21rocsparse_complex_numIfEEEv20rocsparse_direction_iiiNS_24const_host_device_scalarIT1_EEPKiS8_PKS5_S6_S8_S8_SA_S8_PiPS5_21rocsparse_index_base_SD_SD_b: ; @_ZN9rocsparseL39bsrgeam_block_per_row_multipass_kernel2ILj256ELj16E21rocsparse_complex_numIfEEEv20rocsparse_direction_iiiNS_24const_host_device_scalarIT1_EEPKiS8_PKS5_S6_S8_S8_SA_S8_PiPS5_21rocsparse_index_base_SD_SD_b
; %bb.0:
	s_clause 0x2
	s_load_b128 s[4:7], s[0:1], 0x68
	s_load_b64 s[10:11], s[0:1], 0x10
	s_load_b64 s[8:9], s[0:1], 0x30
	s_wait_kmcnt 0x0
	s_bitcmp1_b32 s7, 0
	s_cselect_b32 s2, -1, 0
	s_delay_alu instid0(SALU_CYCLE_1)
	s_xor_b32 s3, s2, -1
	s_and_b32 vcc_lo, exec_lo, s2
	s_mov_b32 s2, s10
	s_cbranch_vccz .LBB22_52
; %bb.1:
	v_cndmask_b32_e64 v1, 0, 1, s3
	s_and_not1_b32 vcc_lo, exec_lo, s3
	s_mov_b32 s3, s11
	s_cbranch_vccz .LBB22_53
.LBB22_2:
	s_delay_alu instid0(VALU_DEP_1)
	v_cmp_ne_u32_e32 vcc_lo, 1, v1
	s_mov_b32 s16, s8
	s_cbranch_vccnz .LBB22_4
.LBB22_3:
	s_load_b32 s16, s[8:9], 0x0
.LBB22_4:
	s_wait_xcnt 0x0
	s_clause 0x2
	s_load_b64 s[10:11], s[0:1], 0x50
	s_load_b64 s[14:15], s[0:1], 0x18
	;; [unrolled: 1-line block ×3, first 2 shown]
	v_cmp_ne_u32_e32 vcc_lo, 1, v1
	s_mov_b32 s17, s9
	s_cbranch_vccnz .LBB22_6
; %bb.5:
	s_load_b32 s17, s[8:9], 0x4
.LBB22_6:
	s_bfe_u32 s7, ttmp6, 0x4000c
	s_wait_xcnt 0x0
	s_and_b32 s8, ttmp6, 15
	s_add_co_i32 s7, s7, 1
	s_getreg_b32 s9, hwreg(HW_REG_IB_STS2, 6, 4)
	s_mul_i32 s7, ttmp9, s7
	s_delay_alu instid0(SALU_CYCLE_1) | instskip(SKIP_2) | instid1(SALU_CYCLE_1)
	s_add_co_i32 s8, s8, s7
	s_cmp_eq_u32 s9, 0
	s_cselect_b32 s8, ttmp9, s8
	s_ashr_i32 s9, s8, 31
	s_delay_alu instid0(SALU_CYCLE_1)
	s_lshl_b64 s[8:9], s[8:9], 2
	s_wait_kmcnt 0x0
	s_add_nc_u64 s[14:15], s[14:15], s[8:9]
	s_add_nc_u64 s[12:13], s[12:13], s[8:9]
	s_load_b64 s[28:29], s[14:15], 0x0
	s_clause 0x1
	s_load_b64 s[18:19], s[0:1], 0x8
	s_load_b64 s[20:21], s[0:1], 0x20
	s_load_b64 s[30:31], s[12:13], 0x0
	s_add_nc_u64 s[26:27], s[10:11], s[8:9]
	s_wait_kmcnt 0x0
	s_mov_b32 s23, s18
	s_sub_co_i32 s22, s28, s4
	s_cmp_ge_i32 s28, s29
	s_cbranch_scc1 .LBB22_8
; %bb.7:
	s_ashr_i32 s23, s22, 31
	s_delay_alu instid0(SALU_CYCLE_1) | instskip(NEXT) | instid1(SALU_CYCLE_1)
	s_lshl_b64 s[8:9], s[22:23], 2
	s_add_nc_u64 s[8:9], s[20:21], s[8:9]
	s_load_b32 s7, s[8:9], 0x0
	s_wait_kmcnt 0x0
	s_sub_co_i32 s23, s7, s4
.LBB22_8:
	s_clause 0x2
	s_load_b128 s[8:11], s[0:1], 0x58
	s_load_b64 s[24:25], s[0:1], 0x28
	s_load_b128 s[12:15], s[0:1], 0x40
	s_load_b32 s28, s[26:27], 0x0
	s_wait_xcnt 0x0
	s_sub_co_i32 s26, s30, s5
	s_cmp_ge_i32 s30, s31
	s_mov_b32 s27, s18
	s_cbranch_scc1 .LBB22_10
; %bb.9:
	s_ashr_i32 s27, s26, 31
	s_delay_alu instid0(SALU_CYCLE_1)
	s_lshl_b64 s[34:35], s[26:27], 2
	s_wait_kmcnt 0x0
	s_add_nc_u64 s[34:35], s[12:13], s[34:35]
	s_load_b32 s7, s[34:35], 0x0
	s_wait_kmcnt 0x0
	s_sub_co_i32 s27, s7, s5
.LBB22_10:
	s_load_b32 s30, s[0:1], 0x0
	v_dual_lshrrev_b32 v3, 4, v0 :: v_dual_bitop2_b32 v2, 15, v0 bitop3:0x40
	s_wait_kmcnt 0x0
	s_sub_co_i32 s28, s28, s6
	v_dual_mov_b32 v5, 0 :: v_dual_lshlrev_b32 v4, 3, v0
	s_delay_alu instid0(VALU_DEP_2)
	v_cmp_gt_u32_e32 vcc_lo, s19, v2
	v_cmp_gt_i32_e64 s0, s19, v3
	v_dual_lshlrev_b32 v8, 3, v3 :: v_dual_lshlrev_b32 v9, 7, v2
	v_mov_b64_e32 v[0:1], 0
	s_sub_co_i32 s7, s29, s4
	s_sub_co_i32 s33, s31, s5
	s_min_i32 s37, s27, s23
	v_dual_mov_b32 v6, 1 :: v_dual_mov_b32 v7, s28
	s_and_b32 s34, vcc_lo, s0
	v_add_nc_u32_e32 v8, v8, v9
	s_mov_b32 s1, s2
	s_mov_b32 s29, s16
	s_cmp_lg_u32 s30, 0
	s_mul_i32 s36, s19, s19
	s_cselect_b32 s35, -1, 0
	s_xor_b32 s0, s3, 0x80000000
	s_xor_b32 s28, s17, 0x80000000
	s_branch .LBB22_13
.LBB22_11:                              ;   in Loop: Header=BB22_13 Depth=1
	s_wait_xcnt 0x0
	s_or_b32 exec_lo, exec_lo, s23
.LBB22_12:                              ;   in Loop: Header=BB22_13 Depth=1
	s_wait_storecnt 0x0
	s_barrier_signal -1
	s_barrier_wait -1
	ds_load_b32 v9, v5 offset:2048
	s_cmp_lt_i32 s27, s18
	s_mov_b32 s37, s27
	s_wait_dscnt 0x0
	s_barrier_signal -1
	s_barrier_wait -1
	v_add_nc_u32_e32 v7, v9, v7
	s_cbranch_scc0 .LBB22_51
.LBB22_13:                              ; =>This Loop Header: Depth=1
                                        ;     Child Loop BB22_15 Depth 2
                                        ;     Child Loop BB22_31 Depth 2
	s_cmp_ge_i32 s22, s7
	ds_store_b32 v5, v5 offset:2048
	ds_store_b64 v4, v[0:1]
	s_wait_dscnt 0x0
	s_barrier_signal -1
	s_barrier_wait -1
	s_cbranch_scc1 .LBB22_28
; %bb.14:                               ;   in Loop: Header=BB22_13 Depth=1
	s_mul_i32 s23, s19, s22
	s_mov_b32 s27, 0
	v_dual_add_nc_u32 v9, s23, v3 :: v_dual_add_nc_u32 v10, s23, v2
	s_ashr_i32 s23, s22, 31
	s_mov_b32 s38, s18
	s_wait_xcnt 0x0
	s_lshl_b64 s[30:31], s[22:23], 2
	v_mad_u32 v9, s19, v9, v2
	v_mad_u32 v10, s19, v10, v3
	s_add_nc_u64 s[30:31], s[20:21], s[30:31]
.LBB22_15:                              ;   Parent Loop BB22_13 Depth=1
                                        ; =>  This Inner Loop Header: Depth=2
	s_load_b32 s23, s[30:31], 0x0
	s_mov_b32 s40, -1
	s_wait_kmcnt 0x0
	s_sub_co_i32 s41, s23, s4
                                        ; implicit-def: $sgpr23
	s_delay_alu instid0(SALU_CYCLE_1)
	s_cmp_eq_u32 s41, s37
	s_cselect_b32 s39, -1, 0
	s_cmp_lg_u32 s41, s37
	s_cbranch_scc1 .LBB22_19
; %bb.16:                               ;   in Loop: Header=BB22_15 Depth=2
	s_and_not1_b32 vcc_lo, exec_lo, s40
	s_cbranch_vccz .LBB22_20
.LBB22_17:                              ;   in Loop: Header=BB22_15 Depth=2
	s_and_not1_b32 vcc_lo, exec_lo, s39
	s_mov_b32 s38, -1
	s_cbranch_vccnz .LBB22_25
.LBB22_18:                              ;   in Loop: Header=BB22_15 Depth=2
	s_add_co_i32 s22, s22, 1
	s_add_co_i32 s27, s27, s36
	s_cmp_ge_i32 s22, s7
	s_wait_xcnt 0x0
	s_add_nc_u64 s[30:31], s[30:31], 4
	s_cselect_b32 s38, -1, 0
	s_delay_alu instid0(SALU_CYCLE_1)
	s_and_not1_b32 vcc_lo, exec_lo, s38
	s_cbranch_vccnz .LBB22_26
	s_branch .LBB22_29
.LBB22_19:                              ;   in Loop: Header=BB22_15 Depth=2
	s_min_i32 s23, s41, s38
	s_cbranch_execnz .LBB22_17
.LBB22_20:                              ;   in Loop: Header=BB22_15 Depth=2
	ds_store_b32 v5, v6 offset:2048
	s_and_saveexec_b32 s23, s34
	s_cbranch_execz .LBB22_24
; %bb.21:                               ;   in Loop: Header=BB22_15 Depth=2
	s_and_b32 vcc_lo, exec_lo, s35
	s_cbranch_vccz .LBB22_27
; %bb.22:                               ;   in Loop: Header=BB22_15 Depth=2
	v_add_nc_u32_e32 v11, s27, v10
	v_mov_b64_e32 v[14:15], s[0:1]
	v_mov_b64_e32 v[16:17], s[2:3]
	global_load_b64 v[12:13], v11, s[24:25] scale_offset
	s_wait_loadcnt 0x0
	v_pk_mul_f32 v[14:15], v[12:13], v[14:15] op_sel:[1,0]
	s_delay_alu instid0(VALU_DEP_1)
	v_pk_fma_f32 v[12:13], v[16:17], v[12:13], v[14:15] op_sel_hi:[1,0,1]
	ds_store_b64 v8, v[12:13]
	s_cbranch_execnz .LBB22_24
.LBB22_23:                              ;   in Loop: Header=BB22_15 Depth=2
	s_wait_xcnt 0x0
	v_add_nc_u32_e32 v11, s27, v9
	v_mov_b64_e32 v[14:15], s[0:1]
	v_mov_b64_e32 v[16:17], s[2:3]
	global_load_b64 v[12:13], v11, s[24:25] scale_offset
	s_wait_loadcnt 0x0
	v_pk_mul_f32 v[14:15], v[12:13], v[14:15] op_sel:[1,0]
	s_delay_alu instid0(VALU_DEP_1)
	v_pk_fma_f32 v[12:13], v[16:17], v[12:13], v[14:15] op_sel_hi:[1,0,1]
	ds_store_b64 v4, v[12:13]
.LBB22_24:                              ;   in Loop: Header=BB22_15 Depth=2
	s_wait_xcnt 0x0
	s_or_b32 exec_lo, exec_lo, s23
	s_mov_b32 s23, s38
	s_and_not1_b32 vcc_lo, exec_lo, s39
	s_mov_b32 s38, -1
	s_cbranch_vccz .LBB22_18
.LBB22_25:                              ;   in Loop: Header=BB22_15 Depth=2
                                        ; implicit-def: $sgpr27
                                        ; implicit-def: $sgpr30_sgpr31
	s_and_not1_b32 vcc_lo, exec_lo, s38
	s_cbranch_vccz .LBB22_29
.LBB22_26:                              ;   in Loop: Header=BB22_15 Depth=2
	s_mov_b32 s38, s23
	s_branch .LBB22_15
.LBB22_27:                              ;   in Loop: Header=BB22_15 Depth=2
	s_branch .LBB22_23
.LBB22_28:                              ;   in Loop: Header=BB22_13 Depth=1
	s_mov_b32 s23, s18
.LBB22_29:                              ;   in Loop: Header=BB22_13 Depth=1
	s_cmp_ge_i32 s26, s33
	s_wait_dscnt 0x0
	s_barrier_signal -1
	s_barrier_wait -1
	s_cbranch_scc1 .LBB22_44
; %bb.30:                               ;   in Loop: Header=BB22_13 Depth=1
	s_mul_i32 s27, s19, s26
	s_mov_b32 s38, 0
	v_dual_add_nc_u32 v9, s27, v3 :: v_dual_add_nc_u32 v10, s27, v2
	s_ashr_i32 s27, s26, 31
	s_wait_xcnt 0x0
	s_lshl_b64 s[30:31], s[26:27], 2
	s_delay_alu instid0(VALU_DEP_1)
	v_mad_u32 v9, s19, v9, v2
	v_mad_u32 v10, s19, v10, v3
	s_add_nc_u64 s[30:31], s[12:13], s[30:31]
.LBB22_31:                              ;   Parent Loop BB22_13 Depth=1
                                        ; =>  This Inner Loop Header: Depth=2
	s_load_b32 s27, s[30:31], 0x0
	s_mov_b32 s40, -1
	s_wait_kmcnt 0x0
	s_sub_co_i32 s41, s27, s5
                                        ; implicit-def: $sgpr27
	s_delay_alu instid0(SALU_CYCLE_1)
	s_cmp_eq_u32 s41, s37
	s_cselect_b32 s39, -1, 0
	s_cmp_lg_u32 s41, s37
	s_cbranch_scc1 .LBB22_35
; %bb.32:                               ;   in Loop: Header=BB22_31 Depth=2
	s_and_not1_b32 vcc_lo, exec_lo, s40
	s_cbranch_vccz .LBB22_36
.LBB22_33:                              ;   in Loop: Header=BB22_31 Depth=2
	s_and_not1_b32 vcc_lo, exec_lo, s39
	s_mov_b32 s23, -1
	s_cbranch_vccnz .LBB22_41
.LBB22_34:                              ;   in Loop: Header=BB22_31 Depth=2
	s_add_co_i32 s26, s26, 1
	s_add_co_i32 s38, s38, s36
	s_cmp_ge_i32 s26, s33
	s_wait_xcnt 0x0
	s_add_nc_u64 s[30:31], s[30:31], 4
	s_cselect_b32 s23, -1, 0
	s_delay_alu instid0(SALU_CYCLE_1)
	s_and_not1_b32 vcc_lo, exec_lo, s23
	s_cbranch_vccnz .LBB22_42
	s_branch .LBB22_45
.LBB22_35:                              ;   in Loop: Header=BB22_31 Depth=2
	s_min_i32 s27, s41, s23
	s_cbranch_execnz .LBB22_33
.LBB22_36:                              ;   in Loop: Header=BB22_31 Depth=2
	ds_store_b32 v5, v6 offset:2048
	s_and_saveexec_b32 s27, s34
	s_cbranch_execz .LBB22_40
; %bb.37:                               ;   in Loop: Header=BB22_31 Depth=2
	s_and_b32 vcc_lo, exec_lo, s35
	s_cbranch_vccz .LBB22_43
; %bb.38:                               ;   in Loop: Header=BB22_31 Depth=2
	v_add_nc_u32_e32 v11, s38, v10
	ds_load_b64 v[14:15], v8
	v_mov_b64_e32 v[16:17], s[16:17]
	global_load_b64 v[12:13], v11, s[14:15] scale_offset
	s_wait_loadcnt_dscnt 0x0
	v_pk_fma_f32 v[14:15], v[16:17], v[12:13], v[14:15] op_sel_hi:[1,0,1]
	v_mov_b64_e32 v[16:17], s[28:29]
	s_delay_alu instid0(VALU_DEP_1)
	v_pk_fma_f32 v[12:13], v[16:17], v[12:13], v[14:15] op_sel:[0,1,0]
	ds_store_b64 v8, v[12:13]
	s_cbranch_execnz .LBB22_40
.LBB22_39:                              ;   in Loop: Header=BB22_31 Depth=2
	s_wait_xcnt 0x0
	v_add_nc_u32_e32 v11, s38, v9
	ds_load_b64 v[14:15], v4
	v_mov_b64_e32 v[16:17], s[16:17]
	global_load_b64 v[12:13], v11, s[14:15] scale_offset
	s_wait_loadcnt_dscnt 0x0
	v_pk_fma_f32 v[14:15], v[16:17], v[12:13], v[14:15] op_sel_hi:[1,0,1]
	v_mov_b64_e32 v[16:17], s[28:29]
	s_delay_alu instid0(VALU_DEP_1)
	v_pk_fma_f32 v[12:13], v[16:17], v[12:13], v[14:15] op_sel:[0,1,0]
	ds_store_b64 v4, v[12:13]
.LBB22_40:                              ;   in Loop: Header=BB22_31 Depth=2
	s_wait_xcnt 0x0
	s_or_b32 exec_lo, exec_lo, s27
	s_mov_b32 s27, s23
	s_and_not1_b32 vcc_lo, exec_lo, s39
	s_mov_b32 s23, -1
	s_cbranch_vccz .LBB22_34
.LBB22_41:                              ;   in Loop: Header=BB22_31 Depth=2
                                        ; implicit-def: $sgpr38
                                        ; implicit-def: $sgpr30_sgpr31
	s_and_not1_b32 vcc_lo, exec_lo, s23
	s_cbranch_vccz .LBB22_45
.LBB22_42:                              ;   in Loop: Header=BB22_31 Depth=2
	s_mov_b32 s23, s27
	s_branch .LBB22_31
.LBB22_43:                              ;   in Loop: Header=BB22_31 Depth=2
	s_branch .LBB22_39
.LBB22_44:                              ;   in Loop: Header=BB22_13 Depth=1
	s_mov_b32 s27, s23
.LBB22_45:                              ;   in Loop: Header=BB22_13 Depth=1
	s_wait_dscnt 0x0
	s_barrier_signal -1
	s_barrier_wait -1
	ds_load_b32 v9, v5 offset:2048
	s_wait_dscnt 0x0
	v_cmp_eq_u32_e32 vcc_lo, 0, v9
	s_cbranch_vccnz .LBB22_12
; %bb.46:                               ;   in Loop: Header=BB22_13 Depth=1
	s_add_co_i32 s23, s37, s6
	s_delay_alu instid0(SALU_CYCLE_1)
	v_mov_b32_e32 v9, s23
	global_store_b32 v7, v9, s[8:9] scale_offset
	s_wait_xcnt 0x0
	s_and_saveexec_b32 s23, s34
	s_cbranch_execz .LBB22_11
; %bb.47:                               ;   in Loop: Header=BB22_13 Depth=1
	v_mul_lo_u32 v9, v7, s19
	s_and_b32 vcc_lo, exec_lo, s35
	s_cbranch_vccz .LBB22_49
; %bb.48:                               ;   in Loop: Header=BB22_13 Depth=1
	ds_load_b64 v[10:11], v8
	v_add_nc_u32_e32 v12, v9, v2
	s_delay_alu instid0(VALU_DEP_1)
	v_mad_u32 v12, v12, s19, v3
	s_wait_dscnt 0x0
	global_store_b64 v12, v[10:11], s[10:11] scale_offset
	s_cbranch_execnz .LBB22_11
	s_branch .LBB22_50
.LBB22_49:                              ;   in Loop: Header=BB22_13 Depth=1
.LBB22_50:                              ;   in Loop: Header=BB22_13 Depth=1
	s_wait_xcnt 0x0
	ds_load_b64 v[10:11], v4
	v_add_nc_u32_e32 v9, v9, v3
	s_delay_alu instid0(VALU_DEP_1)
	v_mad_u32 v9, v9, s19, v2
	s_wait_dscnt 0x0
	global_store_b64 v9, v[10:11], s[10:11] scale_offset
	s_branch .LBB22_11
.LBB22_51:
	s_endpgm
.LBB22_52:
	s_load_b32 s2, s[10:11], 0x0
	v_cndmask_b32_e64 v1, 0, 1, s3
	s_and_not1_b32 vcc_lo, exec_lo, s3
	s_mov_b32 s3, s11
	s_cbranch_vccnz .LBB22_2
.LBB22_53:
	s_load_b32 s3, s[10:11], 0x4
	v_cmp_ne_u32_e32 vcc_lo, 1, v1
	s_mov_b32 s16, s8
	s_cbranch_vccz .LBB22_3
	s_branch .LBB22_4
	.section	.rodata,"a",@progbits
	.p2align	6, 0x0
	.amdhsa_kernel _ZN9rocsparseL39bsrgeam_block_per_row_multipass_kernel2ILj256ELj16E21rocsparse_complex_numIfEEEv20rocsparse_direction_iiiNS_24const_host_device_scalarIT1_EEPKiS8_PKS5_S6_S8_S8_SA_S8_PiPS5_21rocsparse_index_base_SD_SD_b
		.amdhsa_group_segment_fixed_size 2052
		.amdhsa_private_segment_fixed_size 0
		.amdhsa_kernarg_size 120
		.amdhsa_user_sgpr_count 2
		.amdhsa_user_sgpr_dispatch_ptr 0
		.amdhsa_user_sgpr_queue_ptr 0
		.amdhsa_user_sgpr_kernarg_segment_ptr 1
		.amdhsa_user_sgpr_dispatch_id 0
		.amdhsa_user_sgpr_kernarg_preload_length 0
		.amdhsa_user_sgpr_kernarg_preload_offset 0
		.amdhsa_user_sgpr_private_segment_size 0
		.amdhsa_wavefront_size32 1
		.amdhsa_uses_dynamic_stack 0
		.amdhsa_enable_private_segment 0
		.amdhsa_system_sgpr_workgroup_id_x 1
		.amdhsa_system_sgpr_workgroup_id_y 0
		.amdhsa_system_sgpr_workgroup_id_z 0
		.amdhsa_system_sgpr_workgroup_info 0
		.amdhsa_system_vgpr_workitem_id 0
		.amdhsa_next_free_vgpr 18
		.amdhsa_next_free_sgpr 42
		.amdhsa_named_barrier_count 0
		.amdhsa_reserve_vcc 1
		.amdhsa_float_round_mode_32 0
		.amdhsa_float_round_mode_16_64 0
		.amdhsa_float_denorm_mode_32 3
		.amdhsa_float_denorm_mode_16_64 3
		.amdhsa_fp16_overflow 0
		.amdhsa_memory_ordered 1
		.amdhsa_forward_progress 1
		.amdhsa_inst_pref_size 13
		.amdhsa_round_robin_scheduling 0
		.amdhsa_exception_fp_ieee_invalid_op 0
		.amdhsa_exception_fp_denorm_src 0
		.amdhsa_exception_fp_ieee_div_zero 0
		.amdhsa_exception_fp_ieee_overflow 0
		.amdhsa_exception_fp_ieee_underflow 0
		.amdhsa_exception_fp_ieee_inexact 0
		.amdhsa_exception_int_div_zero 0
	.end_amdhsa_kernel
	.section	.text._ZN9rocsparseL39bsrgeam_block_per_row_multipass_kernel2ILj256ELj16E21rocsparse_complex_numIfEEEv20rocsparse_direction_iiiNS_24const_host_device_scalarIT1_EEPKiS8_PKS5_S6_S8_S8_SA_S8_PiPS5_21rocsparse_index_base_SD_SD_b,"axG",@progbits,_ZN9rocsparseL39bsrgeam_block_per_row_multipass_kernel2ILj256ELj16E21rocsparse_complex_numIfEEEv20rocsparse_direction_iiiNS_24const_host_device_scalarIT1_EEPKiS8_PKS5_S6_S8_S8_SA_S8_PiPS5_21rocsparse_index_base_SD_SD_b,comdat
.Lfunc_end22:
	.size	_ZN9rocsparseL39bsrgeam_block_per_row_multipass_kernel2ILj256ELj16E21rocsparse_complex_numIfEEEv20rocsparse_direction_iiiNS_24const_host_device_scalarIT1_EEPKiS8_PKS5_S6_S8_S8_SA_S8_PiPS5_21rocsparse_index_base_SD_SD_b, .Lfunc_end22-_ZN9rocsparseL39bsrgeam_block_per_row_multipass_kernel2ILj256ELj16E21rocsparse_complex_numIfEEEv20rocsparse_direction_iiiNS_24const_host_device_scalarIT1_EEPKiS8_PKS5_S6_S8_S8_SA_S8_PiPS5_21rocsparse_index_base_SD_SD_b
                                        ; -- End function
	.set _ZN9rocsparseL39bsrgeam_block_per_row_multipass_kernel2ILj256ELj16E21rocsparse_complex_numIfEEEv20rocsparse_direction_iiiNS_24const_host_device_scalarIT1_EEPKiS8_PKS5_S6_S8_S8_SA_S8_PiPS5_21rocsparse_index_base_SD_SD_b.num_vgpr, 18
	.set _ZN9rocsparseL39bsrgeam_block_per_row_multipass_kernel2ILj256ELj16E21rocsparse_complex_numIfEEEv20rocsparse_direction_iiiNS_24const_host_device_scalarIT1_EEPKiS8_PKS5_S6_S8_S8_SA_S8_PiPS5_21rocsparse_index_base_SD_SD_b.num_agpr, 0
	.set _ZN9rocsparseL39bsrgeam_block_per_row_multipass_kernel2ILj256ELj16E21rocsparse_complex_numIfEEEv20rocsparse_direction_iiiNS_24const_host_device_scalarIT1_EEPKiS8_PKS5_S6_S8_S8_SA_S8_PiPS5_21rocsparse_index_base_SD_SD_b.numbered_sgpr, 42
	.set _ZN9rocsparseL39bsrgeam_block_per_row_multipass_kernel2ILj256ELj16E21rocsparse_complex_numIfEEEv20rocsparse_direction_iiiNS_24const_host_device_scalarIT1_EEPKiS8_PKS5_S6_S8_S8_SA_S8_PiPS5_21rocsparse_index_base_SD_SD_b.num_named_barrier, 0
	.set _ZN9rocsparseL39bsrgeam_block_per_row_multipass_kernel2ILj256ELj16E21rocsparse_complex_numIfEEEv20rocsparse_direction_iiiNS_24const_host_device_scalarIT1_EEPKiS8_PKS5_S6_S8_S8_SA_S8_PiPS5_21rocsparse_index_base_SD_SD_b.private_seg_size, 0
	.set _ZN9rocsparseL39bsrgeam_block_per_row_multipass_kernel2ILj256ELj16E21rocsparse_complex_numIfEEEv20rocsparse_direction_iiiNS_24const_host_device_scalarIT1_EEPKiS8_PKS5_S6_S8_S8_SA_S8_PiPS5_21rocsparse_index_base_SD_SD_b.uses_vcc, 1
	.set _ZN9rocsparseL39bsrgeam_block_per_row_multipass_kernel2ILj256ELj16E21rocsparse_complex_numIfEEEv20rocsparse_direction_iiiNS_24const_host_device_scalarIT1_EEPKiS8_PKS5_S6_S8_S8_SA_S8_PiPS5_21rocsparse_index_base_SD_SD_b.uses_flat_scratch, 0
	.set _ZN9rocsparseL39bsrgeam_block_per_row_multipass_kernel2ILj256ELj16E21rocsparse_complex_numIfEEEv20rocsparse_direction_iiiNS_24const_host_device_scalarIT1_EEPKiS8_PKS5_S6_S8_S8_SA_S8_PiPS5_21rocsparse_index_base_SD_SD_b.has_dyn_sized_stack, 0
	.set _ZN9rocsparseL39bsrgeam_block_per_row_multipass_kernel2ILj256ELj16E21rocsparse_complex_numIfEEEv20rocsparse_direction_iiiNS_24const_host_device_scalarIT1_EEPKiS8_PKS5_S6_S8_S8_SA_S8_PiPS5_21rocsparse_index_base_SD_SD_b.has_recursion, 0
	.set _ZN9rocsparseL39bsrgeam_block_per_row_multipass_kernel2ILj256ELj16E21rocsparse_complex_numIfEEEv20rocsparse_direction_iiiNS_24const_host_device_scalarIT1_EEPKiS8_PKS5_S6_S8_S8_SA_S8_PiPS5_21rocsparse_index_base_SD_SD_b.has_indirect_call, 0
	.section	.AMDGPU.csdata,"",@progbits
; Kernel info:
; codeLenInByte = 1620
; TotalNumSgprs: 44
; NumVgprs: 18
; ScratchSize: 0
; MemoryBound: 0
; FloatMode: 240
; IeeeMode: 1
; LDSByteSize: 2052 bytes/workgroup (compile time only)
; SGPRBlocks: 0
; VGPRBlocks: 1
; NumSGPRsForWavesPerEU: 44
; NumVGPRsForWavesPerEU: 18
; NamedBarCnt: 0
; Occupancy: 16
; WaveLimiterHint : 1
; COMPUTE_PGM_RSRC2:SCRATCH_EN: 0
; COMPUTE_PGM_RSRC2:USER_SGPR: 2
; COMPUTE_PGM_RSRC2:TRAP_HANDLER: 0
; COMPUTE_PGM_RSRC2:TGID_X_EN: 1
; COMPUTE_PGM_RSRC2:TGID_Y_EN: 0
; COMPUTE_PGM_RSRC2:TGID_Z_EN: 0
; COMPUTE_PGM_RSRC2:TIDIG_COMP_CNT: 0
	.section	.text._ZN9rocsparseL39bsrgeam_block_per_row_multipass_kernel2ILj256ELj32E21rocsparse_complex_numIfEEEv20rocsparse_direction_iiiNS_24const_host_device_scalarIT1_EEPKiS8_PKS5_S6_S8_S8_SA_S8_PiPS5_21rocsparse_index_base_SD_SD_b,"axG",@progbits,_ZN9rocsparseL39bsrgeam_block_per_row_multipass_kernel2ILj256ELj32E21rocsparse_complex_numIfEEEv20rocsparse_direction_iiiNS_24const_host_device_scalarIT1_EEPKiS8_PKS5_S6_S8_S8_SA_S8_PiPS5_21rocsparse_index_base_SD_SD_b,comdat
	.globl	_ZN9rocsparseL39bsrgeam_block_per_row_multipass_kernel2ILj256ELj32E21rocsparse_complex_numIfEEEv20rocsparse_direction_iiiNS_24const_host_device_scalarIT1_EEPKiS8_PKS5_S6_S8_S8_SA_S8_PiPS5_21rocsparse_index_base_SD_SD_b ; -- Begin function _ZN9rocsparseL39bsrgeam_block_per_row_multipass_kernel2ILj256ELj32E21rocsparse_complex_numIfEEEv20rocsparse_direction_iiiNS_24const_host_device_scalarIT1_EEPKiS8_PKS5_S6_S8_S8_SA_S8_PiPS5_21rocsparse_index_base_SD_SD_b
	.p2align	8
	.type	_ZN9rocsparseL39bsrgeam_block_per_row_multipass_kernel2ILj256ELj32E21rocsparse_complex_numIfEEEv20rocsparse_direction_iiiNS_24const_host_device_scalarIT1_EEPKiS8_PKS5_S6_S8_S8_SA_S8_PiPS5_21rocsparse_index_base_SD_SD_b,@function
_ZN9rocsparseL39bsrgeam_block_per_row_multipass_kernel2ILj256ELj32E21rocsparse_complex_numIfEEEv20rocsparse_direction_iiiNS_24const_host_device_scalarIT1_EEPKiS8_PKS5_S6_S8_S8_SA_S8_PiPS5_21rocsparse_index_base_SD_SD_b: ; @_ZN9rocsparseL39bsrgeam_block_per_row_multipass_kernel2ILj256ELj32E21rocsparse_complex_numIfEEEv20rocsparse_direction_iiiNS_24const_host_device_scalarIT1_EEPKiS8_PKS5_S6_S8_S8_SA_S8_PiPS5_21rocsparse_index_base_SD_SD_b
; %bb.0:
	s_clause 0x2
	s_load_b128 s[4:7], s[0:1], 0x68
	s_load_b64 s[8:9], s[0:1], 0x10
	s_load_b64 s[2:3], s[0:1], 0x30
	s_wait_kmcnt 0x0
	s_bitcmp1_b32 s7, 0
	s_mov_b32 s16, s8
	s_cselect_b32 s10, -1, 0
	s_delay_alu instid0(SALU_CYCLE_1)
	s_xor_b32 s7, s10, -1
	s_and_b32 vcc_lo, exec_lo, s10
	s_cbranch_vccz .LBB23_97
; %bb.1:
	v_cndmask_b32_e64 v1, 0, 1, s7
	s_and_not1_b32 vcc_lo, exec_lo, s7
	s_mov_b32 s17, s9
	s_cbranch_vccz .LBB23_98
.LBB23_2:
	s_delay_alu instid0(VALU_DEP_1)
	v_cmp_ne_u32_e32 vcc_lo, 1, v1
	s_mov_b32 s18, s2
	s_cbranch_vccnz .LBB23_4
.LBB23_3:
	s_load_b32 s18, s[2:3], 0x0
.LBB23_4:
	s_wait_xcnt 0x0
	s_clause 0x2
	s_load_b64 s[8:9], s[0:1], 0x50
	s_load_b64 s[12:13], s[0:1], 0x18
	;; [unrolled: 1-line block ×3, first 2 shown]
	v_cmp_ne_u32_e32 vcc_lo, 1, v1
	s_mov_b32 s19, s3
	s_cbranch_vccnz .LBB23_6
; %bb.5:
	s_load_b32 s19, s[2:3], 0x4
.LBB23_6:
	s_wait_xcnt 0x0
	s_bfe_u32 s2, ttmp6, 0x4000c
	s_and_b32 s3, ttmp6, 15
	s_add_co_i32 s2, s2, 1
	s_getreg_b32 s7, hwreg(HW_REG_IB_STS2, 6, 4)
	s_mul_i32 s2, ttmp9, s2
	s_delay_alu instid0(SALU_CYCLE_1) | instskip(SKIP_2) | instid1(SALU_CYCLE_1)
	s_add_co_i32 s3, s3, s2
	s_cmp_eq_u32 s7, 0
	s_cselect_b32 s2, ttmp9, s3
	s_ashr_i32 s3, s2, 31
	s_delay_alu instid0(SALU_CYCLE_1)
	s_lshl_b64 s[14:15], s[2:3], 2
	s_wait_kmcnt 0x0
	s_add_nc_u64 s[12:13], s[12:13], s[14:15]
	s_add_nc_u64 s[10:11], s[10:11], s[14:15]
	s_load_b64 s[2:3], s[12:13], 0x0
	s_clause 0x1
	s_load_b64 s[20:21], s[0:1], 0x8
	s_load_b64 s[22:23], s[0:1], 0x20
	;; [unrolled: 1-line block ×3, first 2 shown]
	s_add_nc_u64 s[28:29], s[8:9], s[14:15]
	s_wait_kmcnt 0x0
	s_sub_co_i32 s24, s2, s4
	s_cmp_ge_i32 s2, s3
	s_mov_b32 s2, s20
	s_cbranch_scc1 .LBB23_8
; %bb.7:
	s_ashr_i32 s25, s24, 31
	s_delay_alu instid0(SALU_CYCLE_1) | instskip(NEXT) | instid1(SALU_CYCLE_1)
	s_lshl_b64 s[8:9], s[24:25], 2
	s_add_nc_u64 s[8:9], s[22:23], s[8:9]
	s_load_b32 s2, s[8:9], 0x0
	s_wait_kmcnt 0x0
	s_sub_co_i32 s2, s2, s4
.LBB23_8:
	s_clause 0x2
	s_load_b128 s[8:11], s[0:1], 0x58
	s_load_b64 s[26:27], s[0:1], 0x28
	s_load_b128 s[12:15], s[0:1], 0x40
	s_load_b32 s25, s[28:29], 0x0
	s_wait_xcnt 0x0
	s_sub_co_i32 s28, s30, s5
	s_cmp_ge_i32 s30, s31
	s_mov_b32 s29, s20
	s_cbranch_scc1 .LBB23_10
; %bb.9:
	s_ashr_i32 s29, s28, 31
	s_delay_alu instid0(SALU_CYCLE_1)
	s_lshl_b64 s[34:35], s[28:29], 2
	s_wait_kmcnt 0x0
	s_add_nc_u64 s[34:35], s[12:13], s[34:35]
	s_load_b32 s7, s[34:35], 0x0
	s_wait_kmcnt 0x0
	s_sub_co_i32 s29, s7, s5
.LBB23_10:
	s_load_b32 s30, s[0:1], 0x0
	v_dual_lshrrev_b32 v3, 3, v0 :: v_dual_bitop2_b32 v2, 7, v0 bitop3:0x40
	s_wait_kmcnt 0x0
	s_sub_co_i32 s25, s25, s6
	s_sub_co_i32 s3, s3, s4
	;; [unrolled: 1-line block ×3, first 2 shown]
	v_dual_lshlrev_b32 v0, 8, v3 :: v_dual_bitop2_b32 v5, 16, v2 bitop3:0x54
	v_dual_lshlrev_b32 v11, 8, v2 :: v_dual_bitop2_b32 v4, 8, v2 bitop3:0x54
	v_dual_mov_b32 v8, s25 :: v_dual_bitop2_b32 v6, 24, v2 bitop3:0x54
	v_cmp_gt_i32_e32 vcc_lo, s21, v3
	v_cmp_gt_u32_e64 s0, s21, v2
	s_min_i32 s40, s29, s2
	v_mad_i32_i24 v14, 0xffffff08, v3, v0
	v_dual_lshlrev_b32 v13, 8, v5 :: v_dual_lshlrev_b32 v12, 8, v4
	v_dual_lshlrev_b32 v15, 8, v6 :: v_dual_mov_b32 v9, 0
	s_cmp_lg_u32 s30, 0
	v_lshl_or_b32 v7, v2, 3, v0
	v_cmp_gt_u32_e64 s1, s21, v4
	v_cmp_gt_u32_e64 s2, s21, v5
	s_cselect_b32 s33, -1, 0
	s_and_b32 s36, vcc_lo, s0
	v_cmp_gt_u32_e64 s0, s21, v6
	v_mov_b64_e32 v[0:1], 0
	v_dual_mov_b32 v10, 1 :: v_dual_add_nc_u32 v11, v14, v11
	v_dual_add_nc_u32 v12, v14, v12 :: v_dual_add_nc_u32 v13, v14, v13
	v_add_nc_u32_e32 v14, v14, v15
	s_xor_b32 s30, s17, 0x80000000
	s_xor_b32 s34, s19, 0x80000000
	s_and_b32 s37, vcc_lo, s1
	s_and_b32 s2, vcc_lo, s2
	;; [unrolled: 1-line block ×3, first 2 shown]
	s_mov_b32 s31, s16
	s_mov_b32 s35, s18
	s_mul_i32 s39, s21, s21
	s_branch .LBB23_13
.LBB23_11:                              ;   in Loop: Header=BB23_13 Depth=1
	s_wait_xcnt 0x0
	s_or_b32 exec_lo, exec_lo, s0
.LBB23_12:                              ;   in Loop: Header=BB23_13 Depth=1
	s_wait_storecnt 0x0
	s_barrier_signal -1
	s_barrier_wait -1
	ds_load_b32 v15, v9 offset:8192
	s_cmp_lt_i32 s41, s20
	s_mov_b32 s40, s41
	s_wait_dscnt 0x0
	s_barrier_signal -1
	s_barrier_wait -1
	v_add_nc_u32_e32 v8, v15, v8
	s_cbranch_scc0 .LBB23_96
.LBB23_13:                              ; =>This Loop Header: Depth=1
                                        ;     Child Loop BB23_15 Depth 2
                                        ;     Child Loop BB23_46 Depth 2
	s_cmp_ge_i32 s24, s3
	ds_store_b32 v9, v9 offset:8192
	ds_store_2addr_b64 v7, v[0:1], v[0:1] offset1:8
	ds_store_2addr_b64 v7, v[0:1], v[0:1] offset0:16 offset1:24
	s_wait_dscnt 0x0
	s_barrier_signal -1
	s_barrier_wait -1
	s_cbranch_scc1 .LBB23_43
; %bb.14:                               ;   in Loop: Header=BB23_13 Depth=1
	s_wait_xcnt 0x0
	s_mul_i32 s0, s21, s24
	s_ashr_i32 s25, s24, 31
	v_dual_add_nc_u32 v15, s0, v2 :: v_dual_add_nc_u32 v16, s0, v4
	v_dual_add_nc_u32 v17, s0, v5 :: v_dual_add_nc_u32 v18, s0, v6
	v_add_nc_u32_e32 v19, s0, v3
	s_delay_alu instid0(VALU_DEP_3) | instskip(NEXT) | instid1(VALU_DEP_4)
	v_mad_u32 v15, s21, v15, v3
	v_mad_u32 v16, s21, v16, v3
	s_delay_alu instid0(VALU_DEP_4)
	v_mad_u32 v17, s21, v17, v3
	v_mad_u32 v18, s21, v18, v3
	;; [unrolled: 1-line block ×3, first 2 shown]
	s_lshl_b64 s[0:1], s[24:25], 2
	s_mov_b32 s29, 0
	s_add_nc_u64 s[0:1], s[22:23], s[0:1]
	s_mov_b32 s41, s20
.LBB23_15:                              ;   Parent Loop BB23_13 Depth=1
                                        ; =>  This Inner Loop Header: Depth=2
	s_load_b32 s25, s[0:1], 0x0
	s_mov_b32 s43, -1
	s_wait_kmcnt 0x0
	s_sub_co_i32 s44, s25, s4
                                        ; implicit-def: $sgpr25
	s_delay_alu instid0(SALU_CYCLE_1)
	s_cmp_eq_u32 s44, s40
	s_cselect_b32 s42, -1, 0
	s_cmp_lg_u32 s44, s40
	s_cbranch_scc1 .LBB23_19
; %bb.16:                               ;   in Loop: Header=BB23_15 Depth=2
	s_and_not1_b32 vcc_lo, exec_lo, s43
	s_cbranch_vccz .LBB23_20
.LBB23_17:                              ;   in Loop: Header=BB23_15 Depth=2
	s_and_not1_b32 vcc_lo, exec_lo, s42
	s_mov_b32 s41, -1
	s_cbranch_vccnz .LBB23_37
.LBB23_18:                              ;   in Loop: Header=BB23_15 Depth=2
	s_add_co_i32 s24, s24, 1
	s_add_co_i32 s29, s29, s39
	s_cmp_ge_i32 s24, s3
	s_wait_xcnt 0x0
	s_add_nc_u64 s[0:1], s[0:1], 4
	s_cselect_b32 s41, -1, 0
	s_delay_alu instid0(SALU_CYCLE_1)
	s_and_not1_b32 vcc_lo, exec_lo, s41
	s_cbranch_vccnz .LBB23_38
	s_branch .LBB23_44
.LBB23_19:                              ;   in Loop: Header=BB23_15 Depth=2
	s_min_i32 s25, s44, s41
	s_cbranch_execnz .LBB23_17
.LBB23_20:                              ;   in Loop: Header=BB23_15 Depth=2
	ds_store_b32 v9, v10 offset:8192
	s_and_saveexec_b32 s25, s36
	s_cbranch_execz .LBB23_24
; %bb.21:                               ;   in Loop: Header=BB23_15 Depth=2
	s_and_b32 vcc_lo, exec_lo, s33
	s_cbranch_vccz .LBB23_39
; %bb.22:                               ;   in Loop: Header=BB23_15 Depth=2
	v_add_nc_u32_e32 v20, s29, v15
	v_mov_b64_e32 v[22:23], s[30:31]
	v_mov_b64_e32 v[24:25], s[16:17]
	global_load_b64 v[20:21], v20, s[26:27] scale_offset
	s_wait_loadcnt 0x0
	v_pk_mul_f32 v[22:23], v[20:21], v[22:23] op_sel:[1,0]
	s_wait_xcnt 0x0
	s_delay_alu instid0(VALU_DEP_1)
	v_pk_fma_f32 v[20:21], v[24:25], v[20:21], v[22:23] op_sel_hi:[1,0,1]
	ds_store_b64 v11, v[20:21]
	s_cbranch_execnz .LBB23_24
.LBB23_23:                              ;   in Loop: Header=BB23_15 Depth=2
	v_add_nc_u32_e32 v20, s29, v19
	v_mov_b64_e32 v[22:23], s[30:31]
	v_mov_b64_e32 v[24:25], s[16:17]
	global_load_b64 v[20:21], v20, s[26:27] scale_offset
	s_wait_loadcnt 0x0
	v_pk_mul_f32 v[22:23], v[20:21], v[22:23] op_sel:[1,0]
	s_wait_xcnt 0x0
	s_delay_alu instid0(VALU_DEP_1)
	v_pk_fma_f32 v[20:21], v[24:25], v[20:21], v[22:23] op_sel_hi:[1,0,1]
	ds_store_b64 v7, v[20:21]
.LBB23_24:                              ;   in Loop: Header=BB23_15 Depth=2
	s_or_b32 exec_lo, exec_lo, s25
	s_and_saveexec_b32 s25, s37
	s_cbranch_execz .LBB23_28
; %bb.25:                               ;   in Loop: Header=BB23_15 Depth=2
	s_and_not1_b32 vcc_lo, exec_lo, s33
	s_cbranch_vccnz .LBB23_40
; %bb.26:                               ;   in Loop: Header=BB23_15 Depth=2
	v_add_nc_u32_e32 v20, s29, v16
	v_mov_b64_e32 v[22:23], s[30:31]
	v_mov_b64_e32 v[24:25], s[16:17]
	global_load_b64 v[20:21], v20, s[26:27] scale_offset
	s_wait_loadcnt 0x0
	v_pk_mul_f32 v[22:23], v[20:21], v[22:23] op_sel:[1,0]
	s_wait_xcnt 0x0
	s_delay_alu instid0(VALU_DEP_1)
	v_pk_fma_f32 v[20:21], v[24:25], v[20:21], v[22:23] op_sel_hi:[1,0,1]
	ds_store_b64 v12, v[20:21]
	s_cbranch_execnz .LBB23_28
.LBB23_27:                              ;   in Loop: Header=BB23_15 Depth=2
	v_add3_u32 v20, v19, s29, 8
	v_mov_b64_e32 v[22:23], s[30:31]
	v_mov_b64_e32 v[24:25], s[16:17]
	global_load_b64 v[20:21], v20, s[26:27] scale_offset
	s_wait_loadcnt 0x0
	v_pk_mul_f32 v[22:23], v[20:21], v[22:23] op_sel:[1,0]
	s_wait_xcnt 0x0
	s_delay_alu instid0(VALU_DEP_1)
	v_pk_fma_f32 v[20:21], v[24:25], v[20:21], v[22:23] op_sel_hi:[1,0,1]
	ds_store_b64 v7, v[20:21] offset:64
.LBB23_28:                              ;   in Loop: Header=BB23_15 Depth=2
	s_or_b32 exec_lo, exec_lo, s25
	s_and_saveexec_b32 s25, s2
	s_cbranch_execz .LBB23_32
; %bb.29:                               ;   in Loop: Header=BB23_15 Depth=2
	s_and_not1_b32 vcc_lo, exec_lo, s33
	s_cbranch_vccnz .LBB23_41
; %bb.30:                               ;   in Loop: Header=BB23_15 Depth=2
	v_add_nc_u32_e32 v20, s29, v17
	v_mov_b64_e32 v[22:23], s[30:31]
	v_mov_b64_e32 v[24:25], s[16:17]
	global_load_b64 v[20:21], v20, s[26:27] scale_offset
	s_wait_loadcnt 0x0
	v_pk_mul_f32 v[22:23], v[20:21], v[22:23] op_sel:[1,0]
	s_wait_xcnt 0x0
	s_delay_alu instid0(VALU_DEP_1)
	v_pk_fma_f32 v[20:21], v[24:25], v[20:21], v[22:23] op_sel_hi:[1,0,1]
	ds_store_b64 v13, v[20:21]
	s_cbranch_execnz .LBB23_32
.LBB23_31:                              ;   in Loop: Header=BB23_15 Depth=2
	v_add3_u32 v20, v19, s29, 16
	v_mov_b64_e32 v[22:23], s[30:31]
	v_mov_b64_e32 v[24:25], s[16:17]
	global_load_b64 v[20:21], v20, s[26:27] scale_offset
	s_wait_loadcnt 0x0
	v_pk_mul_f32 v[22:23], v[20:21], v[22:23] op_sel:[1,0]
	s_wait_xcnt 0x0
	s_delay_alu instid0(VALU_DEP_1)
	v_pk_fma_f32 v[20:21], v[24:25], v[20:21], v[22:23] op_sel_hi:[1,0,1]
	ds_store_b64 v7, v[20:21] offset:128
.LBB23_32:                              ;   in Loop: Header=BB23_15 Depth=2
	s_or_b32 exec_lo, exec_lo, s25
	s_and_saveexec_b32 s25, s38
	s_cbranch_execz .LBB23_36
; %bb.33:                               ;   in Loop: Header=BB23_15 Depth=2
	s_and_not1_b32 vcc_lo, exec_lo, s33
	s_cbranch_vccnz .LBB23_42
; %bb.34:                               ;   in Loop: Header=BB23_15 Depth=2
	v_add_nc_u32_e32 v20, s29, v18
	v_mov_b64_e32 v[22:23], s[30:31]
	v_mov_b64_e32 v[24:25], s[16:17]
	global_load_b64 v[20:21], v20, s[26:27] scale_offset
	s_wait_loadcnt 0x0
	v_pk_mul_f32 v[22:23], v[20:21], v[22:23] op_sel:[1,0]
	s_wait_xcnt 0x0
	s_delay_alu instid0(VALU_DEP_1)
	v_pk_fma_f32 v[20:21], v[24:25], v[20:21], v[22:23] op_sel_hi:[1,0,1]
	ds_store_b64 v14, v[20:21]
	s_cbranch_execnz .LBB23_36
.LBB23_35:                              ;   in Loop: Header=BB23_15 Depth=2
	v_add3_u32 v20, v19, s29, 24
	v_mov_b64_e32 v[22:23], s[30:31]
	v_mov_b64_e32 v[24:25], s[16:17]
	global_load_b64 v[20:21], v20, s[26:27] scale_offset
	s_wait_loadcnt 0x0
	v_pk_mul_f32 v[22:23], v[20:21], v[22:23] op_sel:[1,0]
	s_wait_xcnt 0x0
	s_delay_alu instid0(VALU_DEP_1)
	v_pk_fma_f32 v[20:21], v[24:25], v[20:21], v[22:23] op_sel_hi:[1,0,1]
	ds_store_b64 v7, v[20:21] offset:192
.LBB23_36:                              ;   in Loop: Header=BB23_15 Depth=2
	s_or_b32 exec_lo, exec_lo, s25
	s_mov_b32 s25, s41
	s_and_not1_b32 vcc_lo, exec_lo, s42
	s_mov_b32 s41, -1
	s_cbranch_vccz .LBB23_18
.LBB23_37:                              ;   in Loop: Header=BB23_15 Depth=2
                                        ; implicit-def: $sgpr29
                                        ; implicit-def: $sgpr0_sgpr1
	s_and_not1_b32 vcc_lo, exec_lo, s41
	s_cbranch_vccz .LBB23_44
.LBB23_38:                              ;   in Loop: Header=BB23_15 Depth=2
	s_mov_b32 s41, s25
	s_branch .LBB23_15
.LBB23_39:                              ;   in Loop: Header=BB23_15 Depth=2
	s_branch .LBB23_23
.LBB23_40:                              ;   in Loop: Header=BB23_15 Depth=2
	s_branch .LBB23_27
.LBB23_41:                              ;   in Loop: Header=BB23_15 Depth=2
	s_branch .LBB23_31
.LBB23_42:                              ;   in Loop: Header=BB23_15 Depth=2
	s_branch .LBB23_35
.LBB23_43:                              ;   in Loop: Header=BB23_13 Depth=1
	s_mov_b32 s25, s20
.LBB23_44:                              ;   in Loop: Header=BB23_13 Depth=1
	s_cmp_ge_i32 s28, s7
	s_wait_dscnt 0x0
	s_barrier_signal -1
	s_barrier_wait -1
	s_cbranch_scc1 .LBB23_74
; %bb.45:                               ;   in Loop: Header=BB23_13 Depth=1
	s_wait_xcnt 0x0
	s_mul_i32 s0, s21, s28
	s_ashr_i32 s29, s28, 31
	v_dual_add_nc_u32 v15, s0, v2 :: v_dual_add_nc_u32 v16, s0, v4
	v_dual_add_nc_u32 v17, s0, v5 :: v_dual_add_nc_u32 v18, s0, v6
	v_add_nc_u32_e32 v19, s0, v3
	s_delay_alu instid0(VALU_DEP_3) | instskip(NEXT) | instid1(VALU_DEP_4)
	v_mad_u32 v15, s21, v15, v3
	v_mad_u32 v16, s21, v16, v3
	s_delay_alu instid0(VALU_DEP_4)
	v_mad_u32 v17, s21, v17, v3
	v_mad_u32 v18, s21, v18, v3
	v_mad_u32 v19, s21, v19, v2
	s_lshl_b64 s[0:1], s[28:29], 2
	s_mov_b32 s29, 0
	s_add_nc_u64 s[0:1], s[12:13], s[0:1]
.LBB23_46:                              ;   Parent Loop BB23_13 Depth=1
                                        ; =>  This Inner Loop Header: Depth=2
	s_load_b32 s41, s[0:1], 0x0
	s_mov_b32 s43, -1
	s_wait_kmcnt 0x0
	s_sub_co_i32 s44, s41, s5
                                        ; implicit-def: $sgpr41
	s_delay_alu instid0(SALU_CYCLE_1)
	s_cmp_eq_u32 s44, s40
	s_cselect_b32 s42, -1, 0
	s_cmp_lg_u32 s44, s40
	s_cbranch_scc1 .LBB23_50
; %bb.47:                               ;   in Loop: Header=BB23_46 Depth=2
	s_and_not1_b32 vcc_lo, exec_lo, s43
	s_cbranch_vccz .LBB23_51
.LBB23_48:                              ;   in Loop: Header=BB23_46 Depth=2
	s_and_not1_b32 vcc_lo, exec_lo, s42
	s_mov_b32 s25, -1
	s_cbranch_vccnz .LBB23_68
.LBB23_49:                              ;   in Loop: Header=BB23_46 Depth=2
	s_add_co_i32 s28, s28, 1
	s_add_co_i32 s29, s29, s39
	s_cmp_ge_i32 s28, s7
	s_wait_xcnt 0x0
	s_add_nc_u64 s[0:1], s[0:1], 4
	s_cselect_b32 s25, -1, 0
	s_delay_alu instid0(SALU_CYCLE_1)
	s_and_not1_b32 vcc_lo, exec_lo, s25
	s_cbranch_vccnz .LBB23_69
	s_branch .LBB23_75
.LBB23_50:                              ;   in Loop: Header=BB23_46 Depth=2
	s_min_i32 s41, s44, s25
	s_cbranch_execnz .LBB23_48
.LBB23_51:                              ;   in Loop: Header=BB23_46 Depth=2
	ds_store_b32 v9, v10 offset:8192
	s_and_saveexec_b32 s41, s36
	s_cbranch_execz .LBB23_55
; %bb.52:                               ;   in Loop: Header=BB23_46 Depth=2
	s_and_b32 vcc_lo, exec_lo, s33
	s_cbranch_vccz .LBB23_70
; %bb.53:                               ;   in Loop: Header=BB23_46 Depth=2
	v_add_nc_u32_e32 v20, s29, v15
	ds_load_b64 v[22:23], v11
	v_mov_b64_e32 v[24:25], s[18:19]
	global_load_b64 v[20:21], v20, s[14:15] scale_offset
	s_wait_loadcnt_dscnt 0x0
	v_pk_fma_f32 v[22:23], v[24:25], v[20:21], v[22:23] op_sel_hi:[1,0,1]
	v_mov_b64_e32 v[24:25], s[34:35]
	s_wait_xcnt 0x0
	s_delay_alu instid0(VALU_DEP_1)
	v_pk_fma_f32 v[20:21], v[24:25], v[20:21], v[22:23] op_sel:[0,1,0]
	ds_store_b64 v11, v[20:21]
	s_cbranch_execnz .LBB23_55
.LBB23_54:                              ;   in Loop: Header=BB23_46 Depth=2
	v_add_nc_u32_e32 v20, s29, v19
	ds_load_b64 v[22:23], v7
	v_mov_b64_e32 v[24:25], s[18:19]
	global_load_b64 v[20:21], v20, s[14:15] scale_offset
	s_wait_loadcnt_dscnt 0x0
	v_pk_fma_f32 v[22:23], v[24:25], v[20:21], v[22:23] op_sel_hi:[1,0,1]
	v_mov_b64_e32 v[24:25], s[34:35]
	s_wait_xcnt 0x0
	s_delay_alu instid0(VALU_DEP_1)
	v_pk_fma_f32 v[20:21], v[24:25], v[20:21], v[22:23] op_sel:[0,1,0]
	ds_store_b64 v7, v[20:21]
.LBB23_55:                              ;   in Loop: Header=BB23_46 Depth=2
	s_or_b32 exec_lo, exec_lo, s41
	s_and_saveexec_b32 s41, s37
	s_cbranch_execz .LBB23_59
; %bb.56:                               ;   in Loop: Header=BB23_46 Depth=2
	s_and_not1_b32 vcc_lo, exec_lo, s33
	s_cbranch_vccnz .LBB23_71
; %bb.57:                               ;   in Loop: Header=BB23_46 Depth=2
	v_add_nc_u32_e32 v20, s29, v16
	ds_load_b64 v[22:23], v12
	v_mov_b64_e32 v[24:25], s[18:19]
	global_load_b64 v[20:21], v20, s[14:15] scale_offset
	s_wait_loadcnt_dscnt 0x0
	v_pk_fma_f32 v[22:23], v[24:25], v[20:21], v[22:23] op_sel_hi:[1,0,1]
	v_mov_b64_e32 v[24:25], s[34:35]
	s_wait_xcnt 0x0
	s_delay_alu instid0(VALU_DEP_1)
	v_pk_fma_f32 v[20:21], v[24:25], v[20:21], v[22:23] op_sel:[0,1,0]
	ds_store_b64 v12, v[20:21]
	s_cbranch_execnz .LBB23_59
.LBB23_58:                              ;   in Loop: Header=BB23_46 Depth=2
	v_add3_u32 v20, v19, s29, 8
	ds_load_b64 v[22:23], v7 offset:64
	v_mov_b64_e32 v[24:25], s[18:19]
	global_load_b64 v[20:21], v20, s[14:15] scale_offset
	s_wait_loadcnt_dscnt 0x0
	v_pk_fma_f32 v[22:23], v[24:25], v[20:21], v[22:23] op_sel_hi:[1,0,1]
	v_mov_b64_e32 v[24:25], s[34:35]
	s_wait_xcnt 0x0
	s_delay_alu instid0(VALU_DEP_1)
	v_pk_fma_f32 v[20:21], v[24:25], v[20:21], v[22:23] op_sel:[0,1,0]
	ds_store_b64 v7, v[20:21] offset:64
.LBB23_59:                              ;   in Loop: Header=BB23_46 Depth=2
	s_or_b32 exec_lo, exec_lo, s41
	s_and_saveexec_b32 s41, s2
	s_cbranch_execz .LBB23_63
; %bb.60:                               ;   in Loop: Header=BB23_46 Depth=2
	s_and_not1_b32 vcc_lo, exec_lo, s33
	s_cbranch_vccnz .LBB23_72
; %bb.61:                               ;   in Loop: Header=BB23_46 Depth=2
	v_add_nc_u32_e32 v20, s29, v17
	ds_load_b64 v[22:23], v13
	v_mov_b64_e32 v[24:25], s[18:19]
	global_load_b64 v[20:21], v20, s[14:15] scale_offset
	s_wait_loadcnt_dscnt 0x0
	v_pk_fma_f32 v[22:23], v[24:25], v[20:21], v[22:23] op_sel_hi:[1,0,1]
	v_mov_b64_e32 v[24:25], s[34:35]
	s_wait_xcnt 0x0
	s_delay_alu instid0(VALU_DEP_1)
	v_pk_fma_f32 v[20:21], v[24:25], v[20:21], v[22:23] op_sel:[0,1,0]
	ds_store_b64 v13, v[20:21]
	s_cbranch_execnz .LBB23_63
.LBB23_62:                              ;   in Loop: Header=BB23_46 Depth=2
	v_add3_u32 v20, v19, s29, 16
	ds_load_b64 v[22:23], v7 offset:128
	v_mov_b64_e32 v[24:25], s[18:19]
	global_load_b64 v[20:21], v20, s[14:15] scale_offset
	s_wait_loadcnt_dscnt 0x0
	v_pk_fma_f32 v[22:23], v[24:25], v[20:21], v[22:23] op_sel_hi:[1,0,1]
	v_mov_b64_e32 v[24:25], s[34:35]
	s_wait_xcnt 0x0
	s_delay_alu instid0(VALU_DEP_1)
	v_pk_fma_f32 v[20:21], v[24:25], v[20:21], v[22:23] op_sel:[0,1,0]
	ds_store_b64 v7, v[20:21] offset:128
.LBB23_63:                              ;   in Loop: Header=BB23_46 Depth=2
	s_or_b32 exec_lo, exec_lo, s41
	s_and_saveexec_b32 s41, s38
	s_cbranch_execz .LBB23_67
; %bb.64:                               ;   in Loop: Header=BB23_46 Depth=2
	s_and_not1_b32 vcc_lo, exec_lo, s33
	s_cbranch_vccnz .LBB23_73
; %bb.65:                               ;   in Loop: Header=BB23_46 Depth=2
	v_add_nc_u32_e32 v20, s29, v18
	ds_load_b64 v[22:23], v14
	v_mov_b64_e32 v[24:25], s[18:19]
	global_load_b64 v[20:21], v20, s[14:15] scale_offset
	s_wait_loadcnt_dscnt 0x0
	v_pk_fma_f32 v[22:23], v[24:25], v[20:21], v[22:23] op_sel_hi:[1,0,1]
	v_mov_b64_e32 v[24:25], s[34:35]
	s_wait_xcnt 0x0
	s_delay_alu instid0(VALU_DEP_1)
	v_pk_fma_f32 v[20:21], v[24:25], v[20:21], v[22:23] op_sel:[0,1,0]
	ds_store_b64 v14, v[20:21]
	s_cbranch_execnz .LBB23_67
.LBB23_66:                              ;   in Loop: Header=BB23_46 Depth=2
	v_add3_u32 v20, v19, s29, 24
	ds_load_b64 v[22:23], v7 offset:192
	v_mov_b64_e32 v[24:25], s[18:19]
	global_load_b64 v[20:21], v20, s[14:15] scale_offset
	s_wait_loadcnt_dscnt 0x0
	v_pk_fma_f32 v[22:23], v[24:25], v[20:21], v[22:23] op_sel_hi:[1,0,1]
	v_mov_b64_e32 v[24:25], s[34:35]
	s_wait_xcnt 0x0
	s_delay_alu instid0(VALU_DEP_1)
	v_pk_fma_f32 v[20:21], v[24:25], v[20:21], v[22:23] op_sel:[0,1,0]
	ds_store_b64 v7, v[20:21] offset:192
.LBB23_67:                              ;   in Loop: Header=BB23_46 Depth=2
	s_or_b32 exec_lo, exec_lo, s41
	s_mov_b32 s41, s25
	s_and_not1_b32 vcc_lo, exec_lo, s42
	s_mov_b32 s25, -1
	s_cbranch_vccz .LBB23_49
.LBB23_68:                              ;   in Loop: Header=BB23_46 Depth=2
                                        ; implicit-def: $sgpr29
                                        ; implicit-def: $sgpr0_sgpr1
	s_and_not1_b32 vcc_lo, exec_lo, s25
	s_cbranch_vccz .LBB23_75
.LBB23_69:                              ;   in Loop: Header=BB23_46 Depth=2
	s_mov_b32 s25, s41
	s_branch .LBB23_46
.LBB23_70:                              ;   in Loop: Header=BB23_46 Depth=2
	s_branch .LBB23_54
.LBB23_71:                              ;   in Loop: Header=BB23_46 Depth=2
	s_branch .LBB23_58
.LBB23_72:                              ;   in Loop: Header=BB23_46 Depth=2
	s_branch .LBB23_62
.LBB23_73:                              ;   in Loop: Header=BB23_46 Depth=2
	s_branch .LBB23_66
.LBB23_74:                              ;   in Loop: Header=BB23_13 Depth=1
	s_mov_b32 s41, s25
.LBB23_75:                              ;   in Loop: Header=BB23_13 Depth=1
	s_wait_dscnt 0x0
	s_barrier_signal -1
	s_barrier_wait -1
	ds_load_b32 v15, v9 offset:8192
	s_wait_dscnt 0x0
	v_cmp_eq_u32_e32 vcc_lo, 0, v15
	s_cbranch_vccnz .LBB23_12
; %bb.76:                               ;   in Loop: Header=BB23_13 Depth=1
	v_mul_lo_u32 v16, v8, s21
	s_wait_xcnt 0x0
	s_add_co_i32 s0, s40, s6
	s_delay_alu instid0(SALU_CYCLE_1) | instskip(SKIP_2) | instid1(VALU_DEP_1)
	v_mov_b32_e32 v17, s0
	global_store_b32 v8, v17, s[8:9] scale_offset
	v_add_nc_u32_e32 v15, v16, v3
	v_mul_lo_u32 v15, v15, s21
	s_wait_xcnt 0x0
	s_and_saveexec_b32 s0, s36
	s_cbranch_execz .LBB23_80
; %bb.77:                               ;   in Loop: Header=BB23_13 Depth=1
	s_and_b32 vcc_lo, exec_lo, s33
	s_cbranch_vccz .LBB23_91
; %bb.78:                               ;   in Loop: Header=BB23_13 Depth=1
	ds_load_b64 v[18:19], v11
	v_add_nc_u32_e32 v17, v16, v2
	s_delay_alu instid0(VALU_DEP_1)
	v_mad_u32 v17, v17, s21, v3
	s_wait_dscnt 0x0
	global_store_b64 v17, v[18:19], s[10:11] scale_offset
	s_cbranch_execnz .LBB23_80
.LBB23_79:                              ;   in Loop: Header=BB23_13 Depth=1
	s_wait_xcnt 0x0
	ds_load_b64 v[18:19], v7
	v_add_nc_u32_e32 v17, v15, v2
	s_wait_dscnt 0x0
	global_store_b64 v17, v[18:19], s[10:11] scale_offset
.LBB23_80:                              ;   in Loop: Header=BB23_13 Depth=1
	s_wait_xcnt 0x0
	s_or_b32 exec_lo, exec_lo, s0
	s_and_saveexec_b32 s0, s37
	s_cbranch_execz .LBB23_84
; %bb.81:                               ;   in Loop: Header=BB23_13 Depth=1
	s_and_not1_b32 vcc_lo, exec_lo, s33
	s_cbranch_vccnz .LBB23_92
; %bb.82:                               ;   in Loop: Header=BB23_13 Depth=1
	ds_load_b64 v[18:19], v12
	v_add_nc_u32_e32 v17, v16, v4
	s_delay_alu instid0(VALU_DEP_1)
	v_mad_u32 v17, v17, s21, v3
	s_wait_dscnt 0x0
	global_store_b64 v17, v[18:19], s[10:11] scale_offset
	s_cbranch_execnz .LBB23_84
.LBB23_83:                              ;   in Loop: Header=BB23_13 Depth=1
	s_wait_xcnt 0x0
	ds_load_b64 v[18:19], v7 offset:64
	v_add_nc_u32_e32 v17, v15, v4
	s_wait_dscnt 0x0
	global_store_b64 v17, v[18:19], s[10:11] scale_offset
.LBB23_84:                              ;   in Loop: Header=BB23_13 Depth=1
	s_wait_xcnt 0x0
	s_or_b32 exec_lo, exec_lo, s0
	s_and_saveexec_b32 s0, s2
	s_cbranch_execz .LBB23_88
; %bb.85:                               ;   in Loop: Header=BB23_13 Depth=1
	s_and_not1_b32 vcc_lo, exec_lo, s33
	s_cbranch_vccnz .LBB23_93
; %bb.86:                               ;   in Loop: Header=BB23_13 Depth=1
	ds_load_b64 v[18:19], v13
	v_add_nc_u32_e32 v17, v16, v5
	s_delay_alu instid0(VALU_DEP_1)
	v_mad_u32 v17, v17, s21, v3
	s_wait_dscnt 0x0
	global_store_b64 v17, v[18:19], s[10:11] scale_offset
	s_cbranch_execnz .LBB23_88
.LBB23_87:                              ;   in Loop: Header=BB23_13 Depth=1
	s_wait_xcnt 0x0
	ds_load_b64 v[18:19], v7 offset:128
	v_add_nc_u32_e32 v17, v15, v5
	s_wait_dscnt 0x0
	global_store_b64 v17, v[18:19], s[10:11] scale_offset
.LBB23_88:                              ;   in Loop: Header=BB23_13 Depth=1
	s_wait_xcnt 0x0
	s_or_b32 exec_lo, exec_lo, s0
	s_and_saveexec_b32 s0, s38
	s_cbranch_execz .LBB23_11
; %bb.89:                               ;   in Loop: Header=BB23_13 Depth=1
	s_and_not1_b32 vcc_lo, exec_lo, s33
	s_cbranch_vccnz .LBB23_94
; %bb.90:                               ;   in Loop: Header=BB23_13 Depth=1
	ds_load_b64 v[18:19], v14
	v_add_nc_u32_e32 v16, v16, v6
	s_delay_alu instid0(VALU_DEP_1)
	v_mad_u32 v16, v16, s21, v3
	s_wait_dscnt 0x0
	global_store_b64 v16, v[18:19], s[10:11] scale_offset
	s_cbranch_execnz .LBB23_11
	s_branch .LBB23_95
.LBB23_91:                              ;   in Loop: Header=BB23_13 Depth=1
	s_branch .LBB23_79
.LBB23_92:                              ;   in Loop: Header=BB23_13 Depth=1
	s_branch .LBB23_83
.LBB23_93:                              ;   in Loop: Header=BB23_13 Depth=1
	s_branch .LBB23_87
.LBB23_94:                              ;   in Loop: Header=BB23_13 Depth=1
.LBB23_95:                              ;   in Loop: Header=BB23_13 Depth=1
	s_wait_xcnt 0x0
	ds_load_b64 v[16:17], v7 offset:192
	v_add_nc_u32_e32 v15, v15, v6
	s_wait_dscnt 0x0
	global_store_b64 v15, v[16:17], s[10:11] scale_offset
	s_branch .LBB23_11
.LBB23_96:
	s_endpgm
.LBB23_97:
	s_load_b32 s16, s[8:9], 0x0
	v_cndmask_b32_e64 v1, 0, 1, s7
	s_and_not1_b32 vcc_lo, exec_lo, s7
	s_mov_b32 s17, s9
	s_cbranch_vccnz .LBB23_2
.LBB23_98:
	s_load_b32 s17, s[8:9], 0x4
	v_cmp_ne_u32_e32 vcc_lo, 1, v1
	s_mov_b32 s18, s2
	s_cbranch_vccz .LBB23_3
	s_branch .LBB23_4
	.section	.rodata,"a",@progbits
	.p2align	6, 0x0
	.amdhsa_kernel _ZN9rocsparseL39bsrgeam_block_per_row_multipass_kernel2ILj256ELj32E21rocsparse_complex_numIfEEEv20rocsparse_direction_iiiNS_24const_host_device_scalarIT1_EEPKiS8_PKS5_S6_S8_S8_SA_S8_PiPS5_21rocsparse_index_base_SD_SD_b
		.amdhsa_group_segment_fixed_size 8196
		.amdhsa_private_segment_fixed_size 0
		.amdhsa_kernarg_size 120
		.amdhsa_user_sgpr_count 2
		.amdhsa_user_sgpr_dispatch_ptr 0
		.amdhsa_user_sgpr_queue_ptr 0
		.amdhsa_user_sgpr_kernarg_segment_ptr 1
		.amdhsa_user_sgpr_dispatch_id 0
		.amdhsa_user_sgpr_kernarg_preload_length 0
		.amdhsa_user_sgpr_kernarg_preload_offset 0
		.amdhsa_user_sgpr_private_segment_size 0
		.amdhsa_wavefront_size32 1
		.amdhsa_uses_dynamic_stack 0
		.amdhsa_enable_private_segment 0
		.amdhsa_system_sgpr_workgroup_id_x 1
		.amdhsa_system_sgpr_workgroup_id_y 0
		.amdhsa_system_sgpr_workgroup_id_z 0
		.amdhsa_system_sgpr_workgroup_info 0
		.amdhsa_system_vgpr_workitem_id 0
		.amdhsa_next_free_vgpr 26
		.amdhsa_next_free_sgpr 45
		.amdhsa_named_barrier_count 0
		.amdhsa_reserve_vcc 1
		.amdhsa_float_round_mode_32 0
		.amdhsa_float_round_mode_16_64 0
		.amdhsa_float_denorm_mode_32 3
		.amdhsa_float_denorm_mode_16_64 3
		.amdhsa_fp16_overflow 0
		.amdhsa_memory_ordered 1
		.amdhsa_forward_progress 1
		.amdhsa_inst_pref_size 25
		.amdhsa_round_robin_scheduling 0
		.amdhsa_exception_fp_ieee_invalid_op 0
		.amdhsa_exception_fp_denorm_src 0
		.amdhsa_exception_fp_ieee_div_zero 0
		.amdhsa_exception_fp_ieee_overflow 0
		.amdhsa_exception_fp_ieee_underflow 0
		.amdhsa_exception_fp_ieee_inexact 0
		.amdhsa_exception_int_div_zero 0
	.end_amdhsa_kernel
	.section	.text._ZN9rocsparseL39bsrgeam_block_per_row_multipass_kernel2ILj256ELj32E21rocsparse_complex_numIfEEEv20rocsparse_direction_iiiNS_24const_host_device_scalarIT1_EEPKiS8_PKS5_S6_S8_S8_SA_S8_PiPS5_21rocsparse_index_base_SD_SD_b,"axG",@progbits,_ZN9rocsparseL39bsrgeam_block_per_row_multipass_kernel2ILj256ELj32E21rocsparse_complex_numIfEEEv20rocsparse_direction_iiiNS_24const_host_device_scalarIT1_EEPKiS8_PKS5_S6_S8_S8_SA_S8_PiPS5_21rocsparse_index_base_SD_SD_b,comdat
.Lfunc_end23:
	.size	_ZN9rocsparseL39bsrgeam_block_per_row_multipass_kernel2ILj256ELj32E21rocsparse_complex_numIfEEEv20rocsparse_direction_iiiNS_24const_host_device_scalarIT1_EEPKiS8_PKS5_S6_S8_S8_SA_S8_PiPS5_21rocsparse_index_base_SD_SD_b, .Lfunc_end23-_ZN9rocsparseL39bsrgeam_block_per_row_multipass_kernel2ILj256ELj32E21rocsparse_complex_numIfEEEv20rocsparse_direction_iiiNS_24const_host_device_scalarIT1_EEPKiS8_PKS5_S6_S8_S8_SA_S8_PiPS5_21rocsparse_index_base_SD_SD_b
                                        ; -- End function
	.set _ZN9rocsparseL39bsrgeam_block_per_row_multipass_kernel2ILj256ELj32E21rocsparse_complex_numIfEEEv20rocsparse_direction_iiiNS_24const_host_device_scalarIT1_EEPKiS8_PKS5_S6_S8_S8_SA_S8_PiPS5_21rocsparse_index_base_SD_SD_b.num_vgpr, 26
	.set _ZN9rocsparseL39bsrgeam_block_per_row_multipass_kernel2ILj256ELj32E21rocsparse_complex_numIfEEEv20rocsparse_direction_iiiNS_24const_host_device_scalarIT1_EEPKiS8_PKS5_S6_S8_S8_SA_S8_PiPS5_21rocsparse_index_base_SD_SD_b.num_agpr, 0
	.set _ZN9rocsparseL39bsrgeam_block_per_row_multipass_kernel2ILj256ELj32E21rocsparse_complex_numIfEEEv20rocsparse_direction_iiiNS_24const_host_device_scalarIT1_EEPKiS8_PKS5_S6_S8_S8_SA_S8_PiPS5_21rocsparse_index_base_SD_SD_b.numbered_sgpr, 45
	.set _ZN9rocsparseL39bsrgeam_block_per_row_multipass_kernel2ILj256ELj32E21rocsparse_complex_numIfEEEv20rocsparse_direction_iiiNS_24const_host_device_scalarIT1_EEPKiS8_PKS5_S6_S8_S8_SA_S8_PiPS5_21rocsparse_index_base_SD_SD_b.num_named_barrier, 0
	.set _ZN9rocsparseL39bsrgeam_block_per_row_multipass_kernel2ILj256ELj32E21rocsparse_complex_numIfEEEv20rocsparse_direction_iiiNS_24const_host_device_scalarIT1_EEPKiS8_PKS5_S6_S8_S8_SA_S8_PiPS5_21rocsparse_index_base_SD_SD_b.private_seg_size, 0
	.set _ZN9rocsparseL39bsrgeam_block_per_row_multipass_kernel2ILj256ELj32E21rocsparse_complex_numIfEEEv20rocsparse_direction_iiiNS_24const_host_device_scalarIT1_EEPKiS8_PKS5_S6_S8_S8_SA_S8_PiPS5_21rocsparse_index_base_SD_SD_b.uses_vcc, 1
	.set _ZN9rocsparseL39bsrgeam_block_per_row_multipass_kernel2ILj256ELj32E21rocsparse_complex_numIfEEEv20rocsparse_direction_iiiNS_24const_host_device_scalarIT1_EEPKiS8_PKS5_S6_S8_S8_SA_S8_PiPS5_21rocsparse_index_base_SD_SD_b.uses_flat_scratch, 0
	.set _ZN9rocsparseL39bsrgeam_block_per_row_multipass_kernel2ILj256ELj32E21rocsparse_complex_numIfEEEv20rocsparse_direction_iiiNS_24const_host_device_scalarIT1_EEPKiS8_PKS5_S6_S8_S8_SA_S8_PiPS5_21rocsparse_index_base_SD_SD_b.has_dyn_sized_stack, 0
	.set _ZN9rocsparseL39bsrgeam_block_per_row_multipass_kernel2ILj256ELj32E21rocsparse_complex_numIfEEEv20rocsparse_direction_iiiNS_24const_host_device_scalarIT1_EEPKiS8_PKS5_S6_S8_S8_SA_S8_PiPS5_21rocsparse_index_base_SD_SD_b.has_recursion, 0
	.set _ZN9rocsparseL39bsrgeam_block_per_row_multipass_kernel2ILj256ELj32E21rocsparse_complex_numIfEEEv20rocsparse_direction_iiiNS_24const_host_device_scalarIT1_EEPKiS8_PKS5_S6_S8_S8_SA_S8_PiPS5_21rocsparse_index_base_SD_SD_b.has_indirect_call, 0
	.section	.AMDGPU.csdata,"",@progbits
; Kernel info:
; codeLenInByte = 3100
; TotalNumSgprs: 47
; NumVgprs: 26
; ScratchSize: 0
; MemoryBound: 0
; FloatMode: 240
; IeeeMode: 1
; LDSByteSize: 8196 bytes/workgroup (compile time only)
; SGPRBlocks: 0
; VGPRBlocks: 1
; NumSGPRsForWavesPerEU: 47
; NumVGPRsForWavesPerEU: 26
; NamedBarCnt: 0
; Occupancy: 16
; WaveLimiterHint : 1
; COMPUTE_PGM_RSRC2:SCRATCH_EN: 0
; COMPUTE_PGM_RSRC2:USER_SGPR: 2
; COMPUTE_PGM_RSRC2:TRAP_HANDLER: 0
; COMPUTE_PGM_RSRC2:TGID_X_EN: 1
; COMPUTE_PGM_RSRC2:TGID_Y_EN: 0
; COMPUTE_PGM_RSRC2:TGID_Z_EN: 0
; COMPUTE_PGM_RSRC2:TIDIG_COMP_CNT: 0
	.section	.text._ZN9rocsparseL39bsrgeam_wf_per_row_multipass_2_3_kernelILj256ELj2ELj32E21rocsparse_complex_numIdEEEv20rocsparse_direction_iiiNS_24const_host_device_scalarIT2_EEPKiS8_PKS5_S6_S8_S8_SA_S8_PiPS5_21rocsparse_index_base_SD_SD_b,"axG",@progbits,_ZN9rocsparseL39bsrgeam_wf_per_row_multipass_2_3_kernelILj256ELj2ELj32E21rocsparse_complex_numIdEEEv20rocsparse_direction_iiiNS_24const_host_device_scalarIT2_EEPKiS8_PKS5_S6_S8_S8_SA_S8_PiPS5_21rocsparse_index_base_SD_SD_b,comdat
	.globl	_ZN9rocsparseL39bsrgeam_wf_per_row_multipass_2_3_kernelILj256ELj2ELj32E21rocsparse_complex_numIdEEEv20rocsparse_direction_iiiNS_24const_host_device_scalarIT2_EEPKiS8_PKS5_S6_S8_S8_SA_S8_PiPS5_21rocsparse_index_base_SD_SD_b ; -- Begin function _ZN9rocsparseL39bsrgeam_wf_per_row_multipass_2_3_kernelILj256ELj2ELj32E21rocsparse_complex_numIdEEEv20rocsparse_direction_iiiNS_24const_host_device_scalarIT2_EEPKiS8_PKS5_S6_S8_S8_SA_S8_PiPS5_21rocsparse_index_base_SD_SD_b
	.p2align	8
	.type	_ZN9rocsparseL39bsrgeam_wf_per_row_multipass_2_3_kernelILj256ELj2ELj32E21rocsparse_complex_numIdEEEv20rocsparse_direction_iiiNS_24const_host_device_scalarIT2_EEPKiS8_PKS5_S6_S8_S8_SA_S8_PiPS5_21rocsparse_index_base_SD_SD_b,@function
_ZN9rocsparseL39bsrgeam_wf_per_row_multipass_2_3_kernelILj256ELj2ELj32E21rocsparse_complex_numIdEEEv20rocsparse_direction_iiiNS_24const_host_device_scalarIT2_EEPKiS8_PKS5_S6_S8_S8_SA_S8_PiPS5_21rocsparse_index_base_SD_SD_b: ; @_ZN9rocsparseL39bsrgeam_wf_per_row_multipass_2_3_kernelILj256ELj2ELj32E21rocsparse_complex_numIdEEEv20rocsparse_direction_iiiNS_24const_host_device_scalarIT2_EEPKiS8_PKS5_S6_S8_S8_SA_S8_PiPS5_21rocsparse_index_base_SD_SD_b
; %bb.0:
	s_clause 0x1
	s_load_b128 s[4:7], s[0:1], 0x78
	s_load_b128 s[8:11], s[0:1], 0x10
	v_mbcnt_lo_u32_b32 v1, -1, 0
	s_delay_alu instid0(VALU_DEP_1) | instskip(NEXT) | instid1(VALU_DEP_1)
	v_dual_mov_b32 v2, 0 :: v_dual_lshlrev_b32 v3, 20, v1
	v_add_nc_u64_e32 v[2:3], src_flat_scratch_base_lo, v[2:3]
	s_wait_kmcnt 0x0
	s_bitcmp1_b32 s7, 0
	v_mov_b64_e32 v[4:5], s[8:9]
	s_cselect_b32 s2, -1, 0
	v_mov_b64_e32 v[16:17], s[10:11]
	s_delay_alu instid0(VALU_DEP_3)
	v_cndmask_b32_e64 v3, s9, v3, s2
	v_cndmask_b32_e64 v2, s8, v2, s2
	s_and_b32 vcc_lo, exec_lo, s2
	scratch_store_b64 off, v[4:5], off
	flat_load_b64 v[14:15], v[2:3]
	s_cbranch_vccnz .LBB24_2
; %bb.1:
	s_wait_xcnt 0x0
	v_mov_b32_e32 v2, 0
	flat_load_b64 v[16:17], v2, s[8:9] offset:8
.LBB24_2:
	s_load_b96 s[24:26], s[0:1], 0x0
	s_bfe_u32 s3, ttmp6, 0x4000c
	s_and_b32 s7, ttmp6, 15
	s_add_co_i32 s3, s3, 1
	s_getreg_b32 s8, hwreg(HW_REG_IB_STS2, 6, 4)
	s_mul_i32 s3, ttmp9, s3
	v_lshrrev_b32_e32 v10, 5, v0
	s_add_co_i32 s7, s7, s3
	s_cmp_eq_u32 s8, 0
	s_cselect_b32 s3, ttmp9, s7
	s_delay_alu instid0(SALU_CYCLE_1) | instskip(NEXT) | instid1(SALU_CYCLE_1)
	s_lshl_b32 s3, s3, 3
	v_and_or_b32 v12, 0x7fffff8, s3, v10
	s_mov_b32 s3, exec_lo
	s_wait_kmcnt 0x0
	s_delay_alu instid0(VALU_DEP_1)
	v_cmpx_gt_i32_e64 s25, v12
	s_cbranch_execz .LBB24_37
; %bb.3:
	s_clause 0x3
	s_load_b128 s[8:11], s[0:1], 0x20
	s_load_b64 s[16:17], s[0:1], 0x38
	s_load_b128 s[12:15], s[0:1], 0x48
	s_load_b64 s[18:19], s[0:1], 0x60
	v_dual_mov_b32 v18, 0 :: v_dual_lshlrev_b32 v13, 2, v12
	s_add_nc_u64 s[20:21], s[0:1], 56
	s_and_b32 s2, exec_lo, s2
	s_wait_kmcnt 0x0
	global_load_b64 v[6:7], v13, s[8:9]
	s_cselect_b32 s3, s21, s17
	s_cselect_b32 s2, s20, s16
	global_load_b64 v[8:9], v13, s[12:13]
	global_load_b32 v11, v12, s[18:19] scale_offset
	flat_load_b128 v[2:5], v18, s[2:3]
	s_wait_loadcnt 0x3
	s_wait_xcnt 0x1
	v_subrev_nc_u32_e32 v12, s4, v6
	v_cmp_lt_i32_e32 vcc_lo, v6, v7
	v_mov_b32_e32 v6, s26
	s_wait_xcnt 0x0
	s_and_saveexec_b32 s2, vcc_lo
	s_cbranch_execz .LBB24_5
; %bb.4:
	global_load_b32 v6, v12, s[10:11] scale_offset
	s_wait_loadcnt 0x0
	v_subrev_nc_u32_e32 v6, s4, v6
.LBB24_5:
	s_wait_xcnt 0x0
	s_or_b32 exec_lo, exec_lo, s2
	s_clause 0x2
	s_load_b128 s[16:19], s[0:1], 0x68
	s_load_b64 s[2:3], s[0:1], 0x58
	s_load_b64 s[8:9], s[0:1], 0x30
	s_wait_loadcnt 0x2
	v_subrev_nc_u32_e32 v13, s5, v8
	v_cmp_lt_i32_e32 vcc_lo, v8, v9
	v_mov_b32_e32 v8, s26
	s_wait_xcnt 0x0
	s_and_saveexec_b32 s0, vcc_lo
	s_cbranch_execz .LBB24_7
; %bb.6:
	global_load_b32 v8, v13, s[14:15] scale_offset
	s_wait_loadcnt 0x0
	v_subrev_nc_u32_e32 v8, s5, v8
.LBB24_7:
	s_wait_xcnt 0x0
	s_or_b32 exec_lo, exec_lo, s0
	v_dual_lshlrev_b32 v20, 11, v10 :: v_dual_bitop2_b32 v10, 31, v0 bitop3:0x40
	s_delay_alu instid0(VALU_DEP_2)
	v_min_i32_e32 v28, v8, v6
	v_xor_b32_e32 v6, 16, v1
	s_movk_i32 s0, 0xe0
	s_wait_loadcnt 0x1
	v_subrev_nc_u32_e32 v24, s6, v11
	v_add_nc_u32_e32 v30, s6, v10
	v_and_or_b32 v21, v0, s0, 0x4000
	v_cmp_gt_i32_e32 vcc_lo, 32, v6
	v_bitop3_b32 v0, v0, 31, v0 bitop3:0xc
	v_lshl_or_b32 v27, v10, 6, v20
	v_xor_b32_e32 v11, 1, v1
	v_dual_cndmask_b32 v6, v1, v6, vcc_lo :: v_dual_bitop2_b32 v8, 4, v1 bitop3:0x14
	s_delay_alu instid0(VALU_DEP_4)
	v_lshrrev_b32_e64 v29, v0, -1
	v_xor_b32_e32 v0, 8, v1
	v_subrev_nc_u32_e32 v23, s5, v9
	v_subrev_nc_u32_e32 v22, s4, v7
	v_lshlrev_b32_e32 v31, 2, v6
	s_cmp_lg_u32 s24, 0
	v_cmp_gt_i32_e32 vcc_lo, 32, v0
	v_or_b32_e32 v6, 16, v27
	s_mov_b32 s20, 0
	s_cselect_b32 s1, -1, 0
	s_cmp_eq_u32 s24, 0
	v_dual_cndmask_b32 v0, v1, v0, vcc_lo :: v_dual_bitop2_b32 v9, 2, v1 bitop3:0x14
	v_cmp_gt_i32_e32 vcc_lo, 32, v8
	v_or_b32_e32 v7, 32, v27
	s_mov_b32 s21, s20
	s_delay_alu instid0(VALU_DEP_3)
	v_lshlrev_b32_e32 v33, 2, v0
	s_mov_b32 s22, s20
	v_cndmask_b32_e32 v8, v1, v8, vcc_lo
	v_cmp_gt_i32_e32 vcc_lo, 32, v9
	s_mov_b32 s23, s20
	v_dual_add_nc_u32 v25, v12, v10 :: v_dual_bitop2_b32 v32, 48, v27 bitop3:0x54
	v_add_nc_u32_e32 v26, v13, v10
	v_dual_cndmask_b32 v9, v1, v9 :: v_dual_lshlrev_b32 v34, 2, v8
	v_cmp_gt_i32_e32 vcc_lo, 32, v11
	v_dual_mov_b32 v40, 1 :: v_dual_add_nc_u32 v39, v21, v10
	v_cndmask_b32_e32 v1, v1, v11, vcc_lo
	s_cselect_b32 vcc_lo, -1, 0
	s_delay_alu instid0(SALU_CYCLE_1) | instskip(NEXT) | instid1(VALU_DEP_2)
	v_dual_lshlrev_b32 v35, 2, v9 :: v_dual_cndmask_b32 v37, v7, v6, vcc_lo
	v_dual_cndmask_b32 v38, v6, v7, vcc_lo :: v_dual_lshlrev_b32 v36, 2, v1
	v_mov_b64_e32 v[6:7], s[20:21]
	v_mov_b64_e32 v[8:9], s[22:23]
	v_mov_b32_e32 v1, 0
	s_branch .LBB24_9
.LBB24_8:                               ;   in Loop: Header=BB24_9 Depth=1
	s_wait_xcnt 0x0
	s_or_b32 exec_lo, exec_lo, s6
	ds_bpermute_b32 v0, v31, v41
	s_bcnt1_i32_b32 s6, vcc_lo
	s_wait_dscnt 0x0
	v_dual_add_nc_u32 v24, s6, v24 :: v_dual_min_i32 v0, v0, v41
	ds_bpermute_b32 v10, v33, v0
	s_wait_dscnt 0x0
	v_min_i32_e32 v0, v10, v0
	ds_bpermute_b32 v10, v34, v0
	s_wait_dscnt 0x0
	v_min_i32_e32 v0, v10, v0
	;; [unrolled: 3-line block ×4, first 2 shown]
	s_delay_alu instid0(VALU_DEP_1) | instskip(SKIP_1) | instid1(SALU_CYCLE_1)
	v_cmp_le_i32_e64 s0, s26, v28
	s_or_b32 s20, s0, s20
	s_and_not1_b32 exec_lo, exec_lo, s20
	s_cbranch_execz .LBB24_37
.LBB24_9:                               ; =>This Loop Header: Depth=1
                                        ;     Child Loop BB24_12 Depth 2
                                        ;     Child Loop BB24_25 Depth 2
	v_mov_b32_e32 v41, s26
	s_mov_b32 s6, exec_lo
	ds_store_b8 v39, v1
	ds_store_b128 v27, v[6:9]
	ds_store_b128 v27, v[6:9] offset:16
	ds_store_b128 v27, v[6:9] offset:32
	;; [unrolled: 1-line block ×3, first 2 shown]
	s_wait_storecnt 0x0
	s_wait_loadcnt_dscnt 0x0
	v_cmpx_lt_i32_e64 v25, v22
	s_cbranch_execz .LBB24_22
; %bb.10:                               ;   in Loop: Header=BB24_9 Depth=1
	v_dual_mov_b32 v41, s26 :: v_dual_lshlrev_b32 v0, 2, v25
	s_mov_b32 s7, 0
	s_branch .LBB24_12
.LBB24_11:                              ;   in Loop: Header=BB24_12 Depth=2
	s_or_b32 exec_lo, exec_lo, s13
	s_delay_alu instid0(SALU_CYCLE_1) | instskip(NEXT) | instid1(SALU_CYCLE_1)
	s_and_b32 s0, exec_lo, s12
	s_or_b32 s7, s0, s7
	s_delay_alu instid0(SALU_CYCLE_1)
	s_and_not1_b32 exec_lo, exec_lo, s7
	s_cbranch_execz .LBB24_21
.LBB24_12:                              ;   Parent Loop BB24_9 Depth=1
                                        ; =>  This Inner Loop Header: Depth=2
	global_load_b32 v10, v25, s[10:11] scale_offset
	s_mov_b32 s12, exec_lo
	s_wait_loadcnt 0x0
	v_subrev_nc_u32_e32 v11, s4, v10
	s_delay_alu instid0(VALU_DEP_1) | instskip(NEXT) | instid1(VALU_DEP_1)
	v_sub_nc_u32_e32 v10, v11, v28
	v_cmp_gt_u32_e64 s0, 32, v10
	s_wait_xcnt 0x0
	v_cmpx_lt_u32_e32 31, v10
	s_xor_b32 s12, exec_lo, s12
; %bb.13:                               ;   in Loop: Header=BB24_12 Depth=2
	v_min_i32_e32 v41, v11, v41
                                        ; implicit-def: $vgpr10
; %bb.14:                               ;   in Loop: Header=BB24_12 Depth=2
	s_and_not1_saveexec_b32 s12, s12
	s_cbranch_execz .LBB24_19
; %bb.15:                               ;   in Loop: Header=BB24_12 Depth=2
	s_wait_kmcnt 0x0
	global_load_b128 v[42:45], v0, s[8:9] scale_offset
	s_mov_b32 s13, -1
	s_and_not1_b32 vcc_lo, exec_lo, s1
	v_dual_lshlrev_b32 v11, 6, v10 :: v_dual_add_nc_u32 v13, v21, v10
	s_delay_alu instid0(VALU_DEP_1) | instskip(SKIP_4) | instid1(VALU_DEP_2)
	v_add_nc_u32_e32 v12, v20, v11
	v_lshl_add_u64 v[10:11], v[0:1], 4, s[8:9]
	s_wait_loadcnt 0x0
	v_mul_f64_e64 v[46:47], v[44:45], -v[16:17]
	v_mul_f64_e32 v[48:49], v[14:15], v[44:45]
	v_fmac_f64_e32 v[46:47], v[14:15], v[42:43]
	s_delay_alu instid0(VALU_DEP_2)
	v_fmac_f64_e32 v[48:49], v[16:17], v[42:43]
	ds_store_b8 v13, v40
	ds_store_b128 v12, v[46:49]
	s_cbranch_vccnz .LBB24_17
; %bb.16:                               ;   in Loop: Header=BB24_12 Depth=2
	s_clause 0x2
	global_load_b128 v[42:45], v[10:11], off offset:32
	global_load_b128 v[46:49], v[10:11], off offset:16
	;; [unrolled: 1-line block ×3, first 2 shown]
	s_mov_b32 s13, 0
	s_wait_loadcnt 0x2
	v_mul_f64_e64 v[54:55], v[44:45], -v[16:17]
	v_mul_f64_e32 v[56:57], v[14:15], v[44:45]
	s_wait_loadcnt 0x1
	v_mul_f64_e64 v[58:59], v[48:49], -v[16:17]
	v_mul_f64_e32 v[60:61], v[14:15], v[48:49]
	;; [unrolled: 3-line block ×3, first 2 shown]
	v_fmac_f64_e32 v[54:55], v[14:15], v[42:43]
	v_fmac_f64_e32 v[56:57], v[16:17], v[42:43]
	;; [unrolled: 1-line block ×6, first 2 shown]
	ds_store_b128 v12, v[54:57] offset:16
	ds_store_b128 v12, v[58:61] offset:32
	ds_store_b128 v12, v[62:65] offset:48
.LBB24_17:                              ;   in Loop: Header=BB24_12 Depth=2
	s_and_not1_b32 vcc_lo, exec_lo, s13
	s_cbranch_vccnz .LBB24_19
; %bb.18:                               ;   in Loop: Header=BB24_12 Depth=2
	s_clause 0x2
	global_load_b128 v[42:45], v[10:11], off offset:16
	global_load_b128 v[46:49], v[10:11], off offset:32
	;; [unrolled: 1-line block ×3, first 2 shown]
	s_wait_loadcnt 0x2
	v_mul_f64_e64 v[54:55], v[44:45], -v[16:17]
	v_mul_f64_e32 v[56:57], v[14:15], v[44:45]
	s_wait_loadcnt 0x1
	v_mul_f64_e64 v[58:59], v[48:49], -v[16:17]
	v_mul_f64_e32 v[60:61], v[14:15], v[48:49]
	s_wait_loadcnt 0x0
	v_mul_f64_e64 v[62:63], v[52:53], -v[16:17]
	v_mul_f64_e32 v[64:65], v[14:15], v[52:53]
	v_fmac_f64_e32 v[54:55], v[14:15], v[42:43]
	v_fmac_f64_e32 v[56:57], v[16:17], v[42:43]
	;; [unrolled: 1-line block ×6, first 2 shown]
	ds_store_b128 v12, v[54:57] offset:16
	ds_store_b128 v12, v[58:61] offset:32
	;; [unrolled: 1-line block ×3, first 2 shown]
.LBB24_19:                              ;   in Loop: Header=BB24_12 Depth=2
	s_wait_xcnt 0x0
	s_or_b32 exec_lo, exec_lo, s12
	s_mov_b32 s12, -1
	s_and_saveexec_b32 s13, s0
	s_cbranch_execz .LBB24_11
; %bb.20:                               ;   in Loop: Header=BB24_12 Depth=2
	v_add_nc_u32_e32 v25, 32, v25
	v_add_nc_u32_e32 v0, 0x80, v0
	s_delay_alu instid0(VALU_DEP_2)
	v_cmp_ge_i32_e32 vcc_lo, v25, v22
	s_or_not1_b32 s12, vcc_lo, exec_lo
	s_branch .LBB24_11
.LBB24_21:                              ;   in Loop: Header=BB24_9 Depth=1
	s_or_b32 exec_lo, exec_lo, s7
.LBB24_22:                              ;   in Loop: Header=BB24_9 Depth=1
	s_delay_alu instid0(SALU_CYCLE_1) | instskip(NEXT) | instid1(SALU_CYCLE_1)
	s_or_b32 exec_lo, exec_lo, s6
	s_mov_b32 s6, exec_lo
	s_wait_dscnt 0x0
	v_cmpx_lt_i32_e64 v26, v23
	s_cbranch_execz .LBB24_35
; %bb.23:                               ;   in Loop: Header=BB24_9 Depth=1
	v_lshlrev_b32_e32 v0, 2, v26
	s_mov_b32 s7, 0
	s_branch .LBB24_25
.LBB24_24:                              ;   in Loop: Header=BB24_25 Depth=2
	s_or_b32 exec_lo, exec_lo, s13
	s_delay_alu instid0(SALU_CYCLE_1) | instskip(NEXT) | instid1(SALU_CYCLE_1)
	s_and_b32 s0, exec_lo, s12
	s_or_b32 s7, s0, s7
	s_delay_alu instid0(SALU_CYCLE_1)
	s_and_not1_b32 exec_lo, exec_lo, s7
	s_cbranch_execz .LBB24_34
.LBB24_25:                              ;   Parent Loop BB24_9 Depth=1
                                        ; =>  This Inner Loop Header: Depth=2
	s_wait_dscnt 0x2
	global_load_b32 v10, v26, s[14:15] scale_offset
	s_mov_b32 s12, exec_lo
	s_wait_loadcnt 0x0
	v_subrev_nc_u32_e32 v10, s5, v10
	s_delay_alu instid0(VALU_DEP_1) | instskip(NEXT) | instid1(VALU_DEP_1)
	v_sub_nc_u32_e32 v18, v10, v28
	v_cmp_gt_u32_e64 s0, 32, v18
	s_wait_xcnt 0x0
	v_cmpx_lt_u32_e32 31, v18
	s_xor_b32 s12, exec_lo, s12
; %bb.26:                               ;   in Loop: Header=BB24_25 Depth=2
	v_min_i32_e32 v41, v10, v41
                                        ; implicit-def: $vgpr18
; %bb.27:                               ;   in Loop: Header=BB24_25 Depth=2
	s_and_not1_saveexec_b32 s12, s12
	s_cbranch_execz .LBB24_32
; %bb.28:                               ;   in Loop: Header=BB24_25 Depth=2
	s_wait_kmcnt 0x0
	global_load_b128 v[44:47], v0, s[2:3] scale_offset
	v_dual_lshlrev_b32 v10, 6, v18 :: v_dual_add_nc_u32 v43, v21, v18
	v_lshl_add_u64 v[18:19], v[0:1], 4, s[2:3]
	s_mov_b32 s13, -1
	s_and_not1_b32 vcc_lo, exec_lo, s1
	s_delay_alu instid0(VALU_DEP_2)
	v_add_nc_u32_e32 v42, v20, v10
	ds_load_b128 v[48:51], v42
	ds_load_b128 v[10:13], v42 offset:16
	s_wait_loadcnt_dscnt 0x1
	v_fmac_f64_e32 v[48:49], v[2:3], v[44:45]
	v_fmac_f64_e32 v[50:51], v[4:5], v[44:45]
	s_delay_alu instid0(VALU_DEP_2) | instskip(NEXT) | instid1(VALU_DEP_2)
	v_fma_f64 v[48:49], -v[4:5], v[46:47], v[48:49]
	v_fmac_f64_e32 v[50:51], v[2:3], v[46:47]
	ds_store_b8 v43, v40
	ds_store_b128 v42, v[48:51]
	s_cbranch_vccnz .LBB24_30
; %bb.29:                               ;   in Loop: Header=BB24_25 Depth=2
	s_clause 0x2
	global_load_b128 v[44:47], v[18:19], off offset:32
	global_load_b128 v[48:51], v[18:19], off offset:16
	;; [unrolled: 1-line block ×3, first 2 shown]
	ds_load_b128 v[56:59], v42 offset:32
	ds_load_b128 v[60:63], v42 offset:48
	s_mov_b32 s13, 0
	s_wait_loadcnt_dscnt 0x204
	v_fma_f64 v[64:65], v[2:3], v[44:45], v[10:11]
	v_fma_f64 v[66:67], v[4:5], v[44:45], v[12:13]
	s_wait_loadcnt_dscnt 0x101
	v_fmac_f64_e32 v[56:57], v[2:3], v[48:49]
	v_fmac_f64_e32 v[58:59], v[4:5], v[48:49]
	s_wait_loadcnt_dscnt 0x0
	v_fmac_f64_e32 v[60:61], v[2:3], v[52:53]
	v_fmac_f64_e32 v[62:63], v[4:5], v[52:53]
	v_fma_f64 v[64:65], -v[4:5], v[46:47], v[64:65]
	v_fmac_f64_e32 v[66:67], v[2:3], v[46:47]
	v_fma_f64 v[56:57], -v[4:5], v[50:51], v[56:57]
	;; [unrolled: 2-line block ×3, first 2 shown]
	v_fmac_f64_e32 v[62:63], v[2:3], v[54:55]
	ds_store_b128 v42, v[64:67] offset:16
	ds_store_b128 v42, v[56:59] offset:32
	;; [unrolled: 1-line block ×3, first 2 shown]
.LBB24_30:                              ;   in Loop: Header=BB24_25 Depth=2
	s_and_not1_b32 vcc_lo, exec_lo, s13
	s_cbranch_vccnz .LBB24_32
; %bb.31:                               ;   in Loop: Header=BB24_25 Depth=2
	s_clause 0x2
	global_load_b128 v[44:47], v[18:19], off offset:16
	global_load_b128 v[48:51], v[18:19], off offset:32
	;; [unrolled: 1-line block ×3, first 2 shown]
	ds_load_b128 v[56:59], v42 offset:32
	ds_load_b128 v[60:63], v42 offset:48
	s_wait_loadcnt_dscnt 0x204
	v_fmac_f64_e32 v[10:11], v[2:3], v[44:45]
	v_fmac_f64_e32 v[12:13], v[4:5], v[44:45]
	s_wait_loadcnt_dscnt 0x101
	v_fmac_f64_e32 v[56:57], v[2:3], v[48:49]
	v_fmac_f64_e32 v[58:59], v[4:5], v[48:49]
	;; [unrolled: 3-line block ×3, first 2 shown]
	v_fma_f64 v[10:11], -v[4:5], v[46:47], v[10:11]
	v_fmac_f64_e32 v[12:13], v[2:3], v[46:47]
	v_fma_f64 v[56:57], -v[4:5], v[50:51], v[56:57]
	v_fmac_f64_e32 v[58:59], v[2:3], v[50:51]
	;; [unrolled: 2-line block ×3, first 2 shown]
	ds_store_b128 v42, v[10:13] offset:16
	ds_store_b128 v42, v[56:59] offset:32
	;; [unrolled: 1-line block ×3, first 2 shown]
.LBB24_32:                              ;   in Loop: Header=BB24_25 Depth=2
	s_wait_xcnt 0x0
	s_or_b32 exec_lo, exec_lo, s12
	s_mov_b32 s12, -1
	s_and_saveexec_b32 s13, s0
	s_cbranch_execz .LBB24_24
; %bb.33:                               ;   in Loop: Header=BB24_25 Depth=2
	v_add_nc_u32_e32 v26, 32, v26
	v_add_nc_u32_e32 v0, 0x80, v0
	s_delay_alu instid0(VALU_DEP_2)
	v_cmp_ge_i32_e32 vcc_lo, v26, v23
	s_or_not1_b32 s12, vcc_lo, exec_lo
	s_branch .LBB24_24
.LBB24_34:                              ;   in Loop: Header=BB24_9 Depth=1
	s_or_b32 exec_lo, exec_lo, s7
.LBB24_35:                              ;   in Loop: Header=BB24_9 Depth=1
	s_delay_alu instid0(SALU_CYCLE_1)
	s_or_b32 exec_lo, exec_lo, s6
	s_wait_dscnt 0x0
	ds_load_u8 v0, v39
	s_mov_b32 s6, exec_lo
	s_wait_dscnt 0x0
	v_and_b32_e32 v10, 1, v0
	v_cmp_ne_u16_e32 vcc_lo, 0, v0
	s_delay_alu instid0(VALU_DEP_2)
	v_cmpx_eq_u32_e32 1, v10
	s_cbranch_execz .LBB24_8
; %bb.36:                               ;   in Loop: Header=BB24_9 Depth=1
	ds_load_2addr_b64 v[10:13], v27 offset1:1
	ds_load_2addr_b64 v[42:45], v37 offset1:1
	ds_load_2addr_b64 v[46:49], v38 offset1:1
	ds_load_2addr_b64 v[50:53], v32 offset1:1
	v_dual_add_nc_u32 v18, v30, v28 :: v_dual_bitop2_b32 v0, vcc_lo, v29 bitop3:0x40
	s_delay_alu instid0(VALU_DEP_1) | instskip(NEXT) | instid1(VALU_DEP_1)
	v_bcnt_u32_b32 v0, v0, 0
	v_add3_u32 v0, v24, v0, -1
	s_delay_alu instid0(VALU_DEP_1)
	v_lshlrev_b32_e32 v19, 2, v0
	s_wait_kmcnt 0x0
	global_store_b32 v0, v18, s[16:17] scale_offset
	s_wait_dscnt 0x3
	global_store_b128 v19, v[10:13], s[18:19] scale_offset
	s_wait_dscnt 0x2
	global_store_b128 v19, v[42:45], s[18:19] offset:16 scale_offset
	s_wait_dscnt 0x1
	global_store_b128 v19, v[46:49], s[18:19] offset:32 scale_offset
	;; [unrolled: 2-line block ×3, first 2 shown]
	s_branch .LBB24_8
.LBB24_37:
	s_endpgm
	.section	.rodata,"a",@progbits
	.p2align	6, 0x0
	.amdhsa_kernel _ZN9rocsparseL39bsrgeam_wf_per_row_multipass_2_3_kernelILj256ELj2ELj32E21rocsparse_complex_numIdEEEv20rocsparse_direction_iiiNS_24const_host_device_scalarIT2_EEPKiS8_PKS5_S6_S8_S8_SA_S8_PiPS5_21rocsparse_index_base_SD_SD_b
		.amdhsa_group_segment_fixed_size 16640
		.amdhsa_private_segment_fixed_size 16
		.amdhsa_kernarg_size 136
		.amdhsa_user_sgpr_count 2
		.amdhsa_user_sgpr_dispatch_ptr 0
		.amdhsa_user_sgpr_queue_ptr 0
		.amdhsa_user_sgpr_kernarg_segment_ptr 1
		.amdhsa_user_sgpr_dispatch_id 0
		.amdhsa_user_sgpr_kernarg_preload_length 0
		.amdhsa_user_sgpr_kernarg_preload_offset 0
		.amdhsa_user_sgpr_private_segment_size 0
		.amdhsa_wavefront_size32 1
		.amdhsa_uses_dynamic_stack 0
		.amdhsa_enable_private_segment 1
		.amdhsa_system_sgpr_workgroup_id_x 1
		.amdhsa_system_sgpr_workgroup_id_y 0
		.amdhsa_system_sgpr_workgroup_id_z 0
		.amdhsa_system_sgpr_workgroup_info 0
		.amdhsa_system_vgpr_workitem_id 0
		.amdhsa_next_free_vgpr 68
		.amdhsa_next_free_sgpr 27
		.amdhsa_named_barrier_count 0
		.amdhsa_reserve_vcc 1
		.amdhsa_float_round_mode_32 0
		.amdhsa_float_round_mode_16_64 0
		.amdhsa_float_denorm_mode_32 3
		.amdhsa_float_denorm_mode_16_64 3
		.amdhsa_fp16_overflow 0
		.amdhsa_memory_ordered 1
		.amdhsa_forward_progress 1
		.amdhsa_inst_pref_size 19
		.amdhsa_round_robin_scheduling 0
		.amdhsa_exception_fp_ieee_invalid_op 0
		.amdhsa_exception_fp_denorm_src 0
		.amdhsa_exception_fp_ieee_div_zero 0
		.amdhsa_exception_fp_ieee_overflow 0
		.amdhsa_exception_fp_ieee_underflow 0
		.amdhsa_exception_fp_ieee_inexact 0
		.amdhsa_exception_int_div_zero 0
	.end_amdhsa_kernel
	.section	.text._ZN9rocsparseL39bsrgeam_wf_per_row_multipass_2_3_kernelILj256ELj2ELj32E21rocsparse_complex_numIdEEEv20rocsparse_direction_iiiNS_24const_host_device_scalarIT2_EEPKiS8_PKS5_S6_S8_S8_SA_S8_PiPS5_21rocsparse_index_base_SD_SD_b,"axG",@progbits,_ZN9rocsparseL39bsrgeam_wf_per_row_multipass_2_3_kernelILj256ELj2ELj32E21rocsparse_complex_numIdEEEv20rocsparse_direction_iiiNS_24const_host_device_scalarIT2_EEPKiS8_PKS5_S6_S8_S8_SA_S8_PiPS5_21rocsparse_index_base_SD_SD_b,comdat
.Lfunc_end24:
	.size	_ZN9rocsparseL39bsrgeam_wf_per_row_multipass_2_3_kernelILj256ELj2ELj32E21rocsparse_complex_numIdEEEv20rocsparse_direction_iiiNS_24const_host_device_scalarIT2_EEPKiS8_PKS5_S6_S8_S8_SA_S8_PiPS5_21rocsparse_index_base_SD_SD_b, .Lfunc_end24-_ZN9rocsparseL39bsrgeam_wf_per_row_multipass_2_3_kernelILj256ELj2ELj32E21rocsparse_complex_numIdEEEv20rocsparse_direction_iiiNS_24const_host_device_scalarIT2_EEPKiS8_PKS5_S6_S8_S8_SA_S8_PiPS5_21rocsparse_index_base_SD_SD_b
                                        ; -- End function
	.set _ZN9rocsparseL39bsrgeam_wf_per_row_multipass_2_3_kernelILj256ELj2ELj32E21rocsparse_complex_numIdEEEv20rocsparse_direction_iiiNS_24const_host_device_scalarIT2_EEPKiS8_PKS5_S6_S8_S8_SA_S8_PiPS5_21rocsparse_index_base_SD_SD_b.num_vgpr, 68
	.set _ZN9rocsparseL39bsrgeam_wf_per_row_multipass_2_3_kernelILj256ELj2ELj32E21rocsparse_complex_numIdEEEv20rocsparse_direction_iiiNS_24const_host_device_scalarIT2_EEPKiS8_PKS5_S6_S8_S8_SA_S8_PiPS5_21rocsparse_index_base_SD_SD_b.num_agpr, 0
	.set _ZN9rocsparseL39bsrgeam_wf_per_row_multipass_2_3_kernelILj256ELj2ELj32E21rocsparse_complex_numIdEEEv20rocsparse_direction_iiiNS_24const_host_device_scalarIT2_EEPKiS8_PKS5_S6_S8_S8_SA_S8_PiPS5_21rocsparse_index_base_SD_SD_b.numbered_sgpr, 27
	.set _ZN9rocsparseL39bsrgeam_wf_per_row_multipass_2_3_kernelILj256ELj2ELj32E21rocsparse_complex_numIdEEEv20rocsparse_direction_iiiNS_24const_host_device_scalarIT2_EEPKiS8_PKS5_S6_S8_S8_SA_S8_PiPS5_21rocsparse_index_base_SD_SD_b.num_named_barrier, 0
	.set _ZN9rocsparseL39bsrgeam_wf_per_row_multipass_2_3_kernelILj256ELj2ELj32E21rocsparse_complex_numIdEEEv20rocsparse_direction_iiiNS_24const_host_device_scalarIT2_EEPKiS8_PKS5_S6_S8_S8_SA_S8_PiPS5_21rocsparse_index_base_SD_SD_b.private_seg_size, 16
	.set _ZN9rocsparseL39bsrgeam_wf_per_row_multipass_2_3_kernelILj256ELj2ELj32E21rocsparse_complex_numIdEEEv20rocsparse_direction_iiiNS_24const_host_device_scalarIT2_EEPKiS8_PKS5_S6_S8_S8_SA_S8_PiPS5_21rocsparse_index_base_SD_SD_b.uses_vcc, 1
	.set _ZN9rocsparseL39bsrgeam_wf_per_row_multipass_2_3_kernelILj256ELj2ELj32E21rocsparse_complex_numIdEEEv20rocsparse_direction_iiiNS_24const_host_device_scalarIT2_EEPKiS8_PKS5_S6_S8_S8_SA_S8_PiPS5_21rocsparse_index_base_SD_SD_b.uses_flat_scratch, 0
	.set _ZN9rocsparseL39bsrgeam_wf_per_row_multipass_2_3_kernelILj256ELj2ELj32E21rocsparse_complex_numIdEEEv20rocsparse_direction_iiiNS_24const_host_device_scalarIT2_EEPKiS8_PKS5_S6_S8_S8_SA_S8_PiPS5_21rocsparse_index_base_SD_SD_b.has_dyn_sized_stack, 0
	.set _ZN9rocsparseL39bsrgeam_wf_per_row_multipass_2_3_kernelILj256ELj2ELj32E21rocsparse_complex_numIdEEEv20rocsparse_direction_iiiNS_24const_host_device_scalarIT2_EEPKiS8_PKS5_S6_S8_S8_SA_S8_PiPS5_21rocsparse_index_base_SD_SD_b.has_recursion, 0
	.set _ZN9rocsparseL39bsrgeam_wf_per_row_multipass_2_3_kernelILj256ELj2ELj32E21rocsparse_complex_numIdEEEv20rocsparse_direction_iiiNS_24const_host_device_scalarIT2_EEPKiS8_PKS5_S6_S8_S8_SA_S8_PiPS5_21rocsparse_index_base_SD_SD_b.has_indirect_call, 0
	.section	.AMDGPU.csdata,"",@progbits
; Kernel info:
; codeLenInByte = 2332
; TotalNumSgprs: 29
; NumVgprs: 68
; ScratchSize: 16
; MemoryBound: 0
; FloatMode: 240
; IeeeMode: 1
; LDSByteSize: 16640 bytes/workgroup (compile time only)
; SGPRBlocks: 0
; VGPRBlocks: 4
; NumSGPRsForWavesPerEU: 29
; NumVGPRsForWavesPerEU: 68
; NamedBarCnt: 0
; Occupancy: 12
; WaveLimiterHint : 1
; COMPUTE_PGM_RSRC2:SCRATCH_EN: 1
; COMPUTE_PGM_RSRC2:USER_SGPR: 2
; COMPUTE_PGM_RSRC2:TRAP_HANDLER: 0
; COMPUTE_PGM_RSRC2:TGID_X_EN: 1
; COMPUTE_PGM_RSRC2:TGID_Y_EN: 0
; COMPUTE_PGM_RSRC2:TGID_Z_EN: 0
; COMPUTE_PGM_RSRC2:TIDIG_COMP_CNT: 0
	.section	.text._ZN9rocsparseL39bsrgeam_wf_per_row_multipass_2_3_kernelILj256ELj2ELj64E21rocsparse_complex_numIdEEEv20rocsparse_direction_iiiNS_24const_host_device_scalarIT2_EEPKiS8_PKS5_S6_S8_S8_SA_S8_PiPS5_21rocsparse_index_base_SD_SD_b,"axG",@progbits,_ZN9rocsparseL39bsrgeam_wf_per_row_multipass_2_3_kernelILj256ELj2ELj64E21rocsparse_complex_numIdEEEv20rocsparse_direction_iiiNS_24const_host_device_scalarIT2_EEPKiS8_PKS5_S6_S8_S8_SA_S8_PiPS5_21rocsparse_index_base_SD_SD_b,comdat
	.globl	_ZN9rocsparseL39bsrgeam_wf_per_row_multipass_2_3_kernelILj256ELj2ELj64E21rocsparse_complex_numIdEEEv20rocsparse_direction_iiiNS_24const_host_device_scalarIT2_EEPKiS8_PKS5_S6_S8_S8_SA_S8_PiPS5_21rocsparse_index_base_SD_SD_b ; -- Begin function _ZN9rocsparseL39bsrgeam_wf_per_row_multipass_2_3_kernelILj256ELj2ELj64E21rocsparse_complex_numIdEEEv20rocsparse_direction_iiiNS_24const_host_device_scalarIT2_EEPKiS8_PKS5_S6_S8_S8_SA_S8_PiPS5_21rocsparse_index_base_SD_SD_b
	.p2align	8
	.type	_ZN9rocsparseL39bsrgeam_wf_per_row_multipass_2_3_kernelILj256ELj2ELj64E21rocsparse_complex_numIdEEEv20rocsparse_direction_iiiNS_24const_host_device_scalarIT2_EEPKiS8_PKS5_S6_S8_S8_SA_S8_PiPS5_21rocsparse_index_base_SD_SD_b,@function
_ZN9rocsparseL39bsrgeam_wf_per_row_multipass_2_3_kernelILj256ELj2ELj64E21rocsparse_complex_numIdEEEv20rocsparse_direction_iiiNS_24const_host_device_scalarIT2_EEPKiS8_PKS5_S6_S8_S8_SA_S8_PiPS5_21rocsparse_index_base_SD_SD_b: ; @_ZN9rocsparseL39bsrgeam_wf_per_row_multipass_2_3_kernelILj256ELj2ELj64E21rocsparse_complex_numIdEEEv20rocsparse_direction_iiiNS_24const_host_device_scalarIT2_EEPKiS8_PKS5_S6_S8_S8_SA_S8_PiPS5_21rocsparse_index_base_SD_SD_b
; %bb.0:
	s_clause 0x1
	s_load_b128 s[4:7], s[0:1], 0x78
	s_load_b128 s[8:11], s[0:1], 0x10
	v_mbcnt_lo_u32_b32 v10, -1, 0
	s_delay_alu instid0(VALU_DEP_1) | instskip(NEXT) | instid1(VALU_DEP_1)
	v_dual_mov_b32 v2, 0 :: v_dual_lshlrev_b32 v3, 20, v10
	v_add_nc_u64_e32 v[2:3], src_flat_scratch_base_lo, v[2:3]
	s_wait_kmcnt 0x0
	s_bitcmp1_b32 s7, 0
	v_mov_b64_e32 v[4:5], s[8:9]
	s_cselect_b32 s2, -1, 0
	v_mov_b64_e32 v[16:17], s[10:11]
	s_delay_alu instid0(VALU_DEP_3)
	v_cndmask_b32_e64 v3, s9, v3, s2
	v_cndmask_b32_e64 v2, s8, v2, s2
	s_and_b32 vcc_lo, exec_lo, s2
	scratch_store_b64 off, v[4:5], off
	flat_load_b64 v[14:15], v[2:3]
	s_cbranch_vccnz .LBB25_2
; %bb.1:
	v_mov_b32_e32 v1, 0
	flat_load_b64 v[16:17], v1, s[8:9] offset:8
.LBB25_2:
	s_load_b96 s[24:26], s[0:1], 0x0
	s_bfe_u32 s3, ttmp6, 0x4000c
	s_and_b32 s7, ttmp6, 15
	s_add_co_i32 s3, s3, 1
	s_getreg_b32 s8, hwreg(HW_REG_IB_STS2, 6, 4)
	s_mul_i32 s3, ttmp9, s3
	v_lshrrev_b32_e32 v1, 6, v0
	s_add_co_i32 s7, s7, s3
	s_cmp_eq_u32 s8, 0
	s_cselect_b32 s3, ttmp9, s7
	s_delay_alu instid0(SALU_CYCLE_1) | instskip(NEXT) | instid1(SALU_CYCLE_1)
	s_lshl_b32 s3, s3, 2
	v_and_or_b32 v12, 0x3fffffc, s3, v1
	s_mov_b32 s3, exec_lo
	s_wait_kmcnt 0x0
	s_delay_alu instid0(VALU_DEP_1)
	v_cmpx_gt_i32_e64 s25, v12
	s_cbranch_execz .LBB25_37
; %bb.3:
	s_clause 0x3
	s_load_b128 s[8:11], s[0:1], 0x20
	s_load_b64 s[16:17], s[0:1], 0x38
	s_load_b128 s[12:15], s[0:1], 0x48
	s_load_b64 s[18:19], s[0:1], 0x60
	v_dual_mov_b32 v18, 0 :: v_dual_lshlrev_b32 v13, 2, v12
	s_add_nc_u64 s[20:21], s[0:1], 56
	s_and_b32 s2, exec_lo, s2
	s_wait_kmcnt 0x0
	global_load_b64 v[6:7], v13, s[8:9]
	s_cselect_b32 s3, s21, s17
	s_cselect_b32 s2, s20, s16
	global_load_b64 v[8:9], v13, s[12:13]
	global_load_b32 v11, v12, s[18:19] scale_offset
	flat_load_b128 v[2:5], v18, s[2:3]
	s_wait_loadcnt 0x3
	s_wait_xcnt 0x1
	v_subrev_nc_u32_e32 v12, s4, v6
	v_cmp_lt_i32_e32 vcc_lo, v6, v7
	v_mov_b32_e32 v6, s26
	s_wait_xcnt 0x0
	s_and_saveexec_b32 s2, vcc_lo
	s_cbranch_execz .LBB25_5
; %bb.4:
	global_load_b32 v6, v12, s[10:11] scale_offset
	s_wait_loadcnt 0x0
	v_subrev_nc_u32_e32 v6, s4, v6
.LBB25_5:
	s_wait_xcnt 0x0
	s_or_b32 exec_lo, exec_lo, s2
	s_clause 0x2
	s_load_b128 s[16:19], s[0:1], 0x68
	s_load_b64 s[2:3], s[0:1], 0x58
	s_load_b64 s[8:9], s[0:1], 0x30
	s_wait_loadcnt 0x2
	v_subrev_nc_u32_e32 v13, s5, v8
	v_cmp_lt_i32_e32 vcc_lo, v8, v9
	v_mov_b32_e32 v8, s26
	s_wait_xcnt 0x0
	s_and_saveexec_b32 s0, vcc_lo
	s_cbranch_execz .LBB25_7
; %bb.6:
	global_load_b32 v8, v13, s[14:15] scale_offset
	s_wait_loadcnt 0x0
	v_subrev_nc_u32_e32 v8, s5, v8
.LBB25_7:
	s_wait_xcnt 0x0
	s_or_b32 exec_lo, exec_lo, s0
	v_dual_lshlrev_b32 v22, 12, v1 :: v_dual_bitop2_b32 v18, 63, v0 bitop3:0x40
	v_subrev_nc_u32_e32 v25, s5, v9
	s_wait_loadcnt 0x1
	v_subrev_nc_u32_e32 v26, s6, v11
	s_movk_i32 s0, 0xc0
	s_cmp_lg_u32 s24, 0
	v_dual_add_nc_u32 v27, v12, v18 :: v_dual_add_nc_u32 v28, v13, v18
	v_xor_b32_e32 v12, 2, v10
	v_xor_b32_e32 v9, 8, v10
	v_or_b32_e32 v1, 32, v10
	v_lshl_or_b32 v29, v18, 6, v22
	v_xor_b32_e32 v13, 1, v10
	v_xor_b32_e32 v11, 4, v10
	v_and_or_b32 v23, v0, s0, 0x4000
	v_cmp_gt_i32_e32 vcc_lo, 32, v1
	v_min_i32_e32 v30, v8, v6
	v_bitop3_b32 v0, v0, 63, v0 bitop3:0xc
	v_subrev_nc_u32_e32 v24, s4, v7
	v_or_b32_e32 v7, 16, v29
	v_cndmask_b32_e32 v6, v10, v1, vcc_lo
	v_or_b32_e32 v8, 32, v29
	v_lshrrev_b64 v[0:1], v0, -1
	v_add_nc_u32_e32 v1, s6, v18
	s_mov_b32 s20, 0
	v_lshlrev_b32_e32 v31, 2, v6
	v_xor_b32_e32 v6, 16, v10
	s_cselect_b32 s1, -1, 0
	s_cmp_eq_u32 s24, 0
	s_mov_b32 s21, s20
	s_mov_b32 s22, s20
	v_cmp_gt_i32_e32 vcc_lo, 32, v6
	v_or_b32_e32 v32, 48, v29
	s_mov_b32 s23, s20
	v_dual_mov_b32 v41, 1 :: v_dual_add_nc_u32 v40, v23, v18
	v_cndmask_b32_e32 v6, v10, v6, vcc_lo
	v_cmp_gt_i32_e32 vcc_lo, 32, v9
	v_dual_mov_b32 v19, 0 :: v_dual_cndmask_b32 v9, v10, v9, vcc_lo
	v_cmp_gt_i32_e32 vcc_lo, 32, v11
	s_delay_alu instid0(VALU_DEP_2) | instskip(SKIP_1) | instid1(VALU_DEP_2)
	v_dual_cndmask_b32 v11, v10, v11 :: v_dual_lshlrev_b32 v34, 2, v9
	v_cmp_gt_i32_e32 vcc_lo, 32, v12
	v_dual_cndmask_b32 v12, v10, v12 :: v_dual_lshlrev_b32 v35, 2, v11
	v_cmp_gt_i32_e32 vcc_lo, 32, v13
	s_delay_alu instid0(VALU_DEP_2) | instskip(SKIP_3) | instid1(VALU_DEP_2)
	v_dual_lshlrev_b32 v33, 2, v6 :: v_dual_lshlrev_b32 v36, 2, v12
	v_cndmask_b32_e32 v10, v10, v13, vcc_lo
	s_cselect_b32 vcc_lo, -1, 0
	v_dual_cndmask_b32 v38, v8, v7 :: v_dual_cndmask_b32 v39, v7, v8
	v_lshlrev_b32_e32 v37, 2, v10
	v_mov_b64_e32 v[6:7], s[20:21]
	v_mov_b64_e32 v[8:9], s[22:23]
	s_branch .LBB25_9
.LBB25_8:                               ;   in Loop: Header=BB25_9 Depth=1
	s_wait_xcnt 0x0
	s_or_b32 exec_lo, exec_lo, s6
	ds_bpermute_b32 v10, v31, v42
	s_bcnt1_i32_b32 s6, vcc_lo
	s_delay_alu instid0(SALU_CYCLE_1)
	v_add_nc_u32_e32 v26, s6, v26
	s_wait_dscnt 0x0
	v_min_i32_e32 v10, v10, v42
	ds_bpermute_b32 v11, v33, v10
	s_wait_dscnt 0x0
	v_min_i32_e32 v10, v11, v10
	ds_bpermute_b32 v11, v34, v10
	;; [unrolled: 3-line block ×5, first 2 shown]
	s_wait_dscnt 0x0
	v_min_i32_e32 v30, v11, v10
	s_delay_alu instid0(VALU_DEP_1) | instskip(SKIP_1) | instid1(SALU_CYCLE_1)
	v_cmp_le_i32_e64 s0, s26, v30
	s_or_b32 s20, s0, s20
	s_and_not1_b32 exec_lo, exec_lo, s20
	s_cbranch_execz .LBB25_37
.LBB25_9:                               ; =>This Loop Header: Depth=1
                                        ;     Child Loop BB25_12 Depth 2
                                        ;     Child Loop BB25_25 Depth 2
	v_mov_b32_e32 v42, s26
	s_mov_b32 s6, exec_lo
	ds_store_b8 v40, v19
	ds_store_b128 v29, v[6:9]
	ds_store_b128 v29, v[6:9] offset:16
	ds_store_b128 v29, v[6:9] offset:32
	;; [unrolled: 1-line block ×3, first 2 shown]
	s_wait_storecnt 0x0
	s_wait_loadcnt_dscnt 0x0
	v_cmpx_lt_i32_e64 v27, v24
	s_cbranch_execz .LBB25_22
; %bb.10:                               ;   in Loop: Header=BB25_9 Depth=1
	v_dual_lshlrev_b32 v18, 2, v27 :: v_dual_mov_b32 v42, s26
	s_mov_b32 s7, 0
	s_branch .LBB25_12
.LBB25_11:                              ;   in Loop: Header=BB25_12 Depth=2
	s_or_b32 exec_lo, exec_lo, s13
	s_delay_alu instid0(SALU_CYCLE_1) | instskip(NEXT) | instid1(SALU_CYCLE_1)
	s_and_b32 s0, exec_lo, s12
	s_or_b32 s7, s0, s7
	s_delay_alu instid0(SALU_CYCLE_1)
	s_and_not1_b32 exec_lo, exec_lo, s7
	s_cbranch_execz .LBB25_21
.LBB25_12:                              ;   Parent Loop BB25_9 Depth=1
                                        ; =>  This Inner Loop Header: Depth=2
	global_load_b32 v10, v27, s[10:11] scale_offset
	s_mov_b32 s12, exec_lo
	s_wait_loadcnt 0x0
	v_subrev_nc_u32_e32 v11, s4, v10
	s_delay_alu instid0(VALU_DEP_1) | instskip(NEXT) | instid1(VALU_DEP_1)
	v_sub_nc_u32_e32 v10, v11, v30
	v_cmp_gt_u32_e64 s0, 64, v10
	s_wait_xcnt 0x0
	v_cmpx_lt_u32_e32 63, v10
	s_xor_b32 s12, exec_lo, s12
; %bb.13:                               ;   in Loop: Header=BB25_12 Depth=2
	v_min_i32_e32 v42, v11, v42
                                        ; implicit-def: $vgpr10
; %bb.14:                               ;   in Loop: Header=BB25_12 Depth=2
	s_and_not1_saveexec_b32 s12, s12
	s_cbranch_execz .LBB25_19
; %bb.15:                               ;   in Loop: Header=BB25_12 Depth=2
	s_wait_kmcnt 0x0
	global_load_b128 v[44:47], v18, s[8:9] scale_offset
	s_mov_b32 s13, -1
	s_and_not1_b32 vcc_lo, exec_lo, s1
	v_dual_lshlrev_b32 v11, 6, v10 :: v_dual_add_nc_u32 v13, v23, v10
	s_delay_alu instid0(VALU_DEP_1) | instskip(SKIP_4) | instid1(VALU_DEP_2)
	v_add_nc_u32_e32 v12, v22, v11
	v_lshl_add_u64 v[10:11], v[18:19], 4, s[8:9]
	s_wait_loadcnt 0x0
	v_mul_f64_e64 v[48:49], v[46:47], -v[16:17]
	v_mul_f64_e32 v[50:51], v[14:15], v[46:47]
	v_fmac_f64_e32 v[48:49], v[14:15], v[44:45]
	s_delay_alu instid0(VALU_DEP_2)
	v_fmac_f64_e32 v[50:51], v[16:17], v[44:45]
	ds_store_b8 v13, v41
	ds_store_b128 v12, v[48:51]
	s_cbranch_vccnz .LBB25_17
; %bb.16:                               ;   in Loop: Header=BB25_12 Depth=2
	s_clause 0x2
	global_load_b128 v[44:47], v[10:11], off offset:32
	global_load_b128 v[48:51], v[10:11], off offset:16
	;; [unrolled: 1-line block ×3, first 2 shown]
	s_mov_b32 s13, 0
	s_wait_loadcnt 0x2
	v_mul_f64_e64 v[56:57], v[46:47], -v[16:17]
	v_mul_f64_e32 v[58:59], v[14:15], v[46:47]
	s_wait_loadcnt 0x1
	v_mul_f64_e64 v[60:61], v[50:51], -v[16:17]
	v_mul_f64_e32 v[62:63], v[14:15], v[50:51]
	;; [unrolled: 3-line block ×3, first 2 shown]
	v_fmac_f64_e32 v[56:57], v[14:15], v[44:45]
	v_fmac_f64_e32 v[58:59], v[16:17], v[44:45]
	;; [unrolled: 1-line block ×6, first 2 shown]
	ds_store_b128 v12, v[56:59] offset:16
	ds_store_b128 v12, v[60:63] offset:32
	;; [unrolled: 1-line block ×3, first 2 shown]
.LBB25_17:                              ;   in Loop: Header=BB25_12 Depth=2
	s_and_not1_b32 vcc_lo, exec_lo, s13
	s_cbranch_vccnz .LBB25_19
; %bb.18:                               ;   in Loop: Header=BB25_12 Depth=2
	s_clause 0x2
	global_load_b128 v[44:47], v[10:11], off offset:16
	global_load_b128 v[48:51], v[10:11], off offset:32
	;; [unrolled: 1-line block ×3, first 2 shown]
	s_wait_loadcnt 0x2
	v_mul_f64_e64 v[56:57], v[46:47], -v[16:17]
	v_mul_f64_e32 v[58:59], v[14:15], v[46:47]
	s_wait_loadcnt 0x1
	v_mul_f64_e64 v[60:61], v[50:51], -v[16:17]
	v_mul_f64_e32 v[62:63], v[14:15], v[50:51]
	;; [unrolled: 3-line block ×3, first 2 shown]
	v_fmac_f64_e32 v[56:57], v[14:15], v[44:45]
	v_fmac_f64_e32 v[58:59], v[16:17], v[44:45]
	;; [unrolled: 1-line block ×6, first 2 shown]
	ds_store_b128 v12, v[56:59] offset:16
	ds_store_b128 v12, v[60:63] offset:32
	ds_store_b128 v12, v[64:67] offset:48
.LBB25_19:                              ;   in Loop: Header=BB25_12 Depth=2
	s_wait_xcnt 0x0
	s_or_b32 exec_lo, exec_lo, s12
	s_mov_b32 s12, -1
	s_and_saveexec_b32 s13, s0
	s_cbranch_execz .LBB25_11
; %bb.20:                               ;   in Loop: Header=BB25_12 Depth=2
	v_add_nc_u32_e32 v27, 64, v27
	v_add_nc_u32_e32 v18, 0x100, v18
	s_delay_alu instid0(VALU_DEP_2)
	v_cmp_ge_i32_e32 vcc_lo, v27, v24
	s_or_not1_b32 s12, vcc_lo, exec_lo
	s_branch .LBB25_11
.LBB25_21:                              ;   in Loop: Header=BB25_9 Depth=1
	s_or_b32 exec_lo, exec_lo, s7
.LBB25_22:                              ;   in Loop: Header=BB25_9 Depth=1
	s_delay_alu instid0(SALU_CYCLE_1) | instskip(NEXT) | instid1(SALU_CYCLE_1)
	s_or_b32 exec_lo, exec_lo, s6
	s_mov_b32 s6, exec_lo
	s_wait_dscnt 0x0
	v_cmpx_lt_i32_e64 v28, v25
	s_cbranch_execz .LBB25_35
; %bb.23:                               ;   in Loop: Header=BB25_9 Depth=1
	v_lshlrev_b32_e32 v18, 2, v28
	s_mov_b32 s7, 0
	s_branch .LBB25_25
.LBB25_24:                              ;   in Loop: Header=BB25_25 Depth=2
	s_or_b32 exec_lo, exec_lo, s13
	s_delay_alu instid0(SALU_CYCLE_1) | instskip(NEXT) | instid1(SALU_CYCLE_1)
	s_and_b32 s0, exec_lo, s12
	s_or_b32 s7, s0, s7
	s_delay_alu instid0(SALU_CYCLE_1)
	s_and_not1_b32 exec_lo, exec_lo, s7
	s_cbranch_execz .LBB25_34
.LBB25_25:                              ;   Parent Loop BB25_9 Depth=1
                                        ; =>  This Inner Loop Header: Depth=2
	s_wait_dscnt 0x2
	global_load_b32 v10, v28, s[14:15] scale_offset
	s_mov_b32 s12, exec_lo
	s_wait_loadcnt 0x0
	v_subrev_nc_u32_e32 v10, s5, v10
	s_delay_alu instid0(VALU_DEP_1) | instskip(NEXT) | instid1(VALU_DEP_1)
	v_sub_nc_u32_e32 v20, v10, v30
	v_cmp_gt_u32_e64 s0, 64, v20
	s_wait_xcnt 0x0
	v_cmpx_lt_u32_e32 63, v20
	s_xor_b32 s12, exec_lo, s12
; %bb.26:                               ;   in Loop: Header=BB25_25 Depth=2
	v_min_i32_e32 v42, v10, v42
                                        ; implicit-def: $vgpr20
; %bb.27:                               ;   in Loop: Header=BB25_25 Depth=2
	s_and_not1_saveexec_b32 s12, s12
	s_cbranch_execz .LBB25_32
; %bb.28:                               ;   in Loop: Header=BB25_25 Depth=2
	s_wait_kmcnt 0x0
	global_load_b128 v[44:47], v18, s[2:3] scale_offset
	v_lshlrev_b32_e32 v10, 6, v20
	s_mov_b32 s13, -1
	s_and_not1_b32 vcc_lo, exec_lo, s1
	s_delay_alu instid0(VALU_DEP_1)
	v_add_nc_u32_e32 v43, v22, v10
	ds_load_b128 v[48:51], v43
	ds_load_b128 v[10:13], v43 offset:16
	s_wait_loadcnt_dscnt 0x1
	v_fmac_f64_e32 v[48:49], v[2:3], v[44:45]
	v_fmac_f64_e32 v[50:51], v[4:5], v[44:45]
	v_add_nc_u32_e32 v44, v23, v20
	v_lshl_add_u64 v[20:21], v[18:19], 4, s[2:3]
	s_delay_alu instid0(VALU_DEP_4) | instskip(NEXT) | instid1(VALU_DEP_4)
	v_fma_f64 v[48:49], -v[4:5], v[46:47], v[48:49]
	v_fmac_f64_e32 v[50:51], v[2:3], v[46:47]
	ds_store_b8 v44, v41
	ds_store_b128 v43, v[48:51]
	s_cbranch_vccnz .LBB25_30
; %bb.29:                               ;   in Loop: Header=BB25_25 Depth=2
	s_clause 0x2
	global_load_b128 v[44:47], v[20:21], off offset:32
	global_load_b128 v[48:51], v[20:21], off offset:16
	;; [unrolled: 1-line block ×3, first 2 shown]
	ds_load_b128 v[56:59], v43 offset:32
	ds_load_b128 v[60:63], v43 offset:48
	s_mov_b32 s13, 0
	s_wait_loadcnt_dscnt 0x204
	v_fma_f64 v[64:65], v[2:3], v[44:45], v[10:11]
	v_fma_f64 v[66:67], v[4:5], v[44:45], v[12:13]
	s_wait_loadcnt_dscnt 0x101
	v_fmac_f64_e32 v[56:57], v[2:3], v[48:49]
	v_fmac_f64_e32 v[58:59], v[4:5], v[48:49]
	s_wait_loadcnt_dscnt 0x0
	v_fmac_f64_e32 v[60:61], v[2:3], v[52:53]
	v_fmac_f64_e32 v[62:63], v[4:5], v[52:53]
	v_fma_f64 v[64:65], -v[4:5], v[46:47], v[64:65]
	v_fmac_f64_e32 v[66:67], v[2:3], v[46:47]
	v_fma_f64 v[56:57], -v[4:5], v[50:51], v[56:57]
	;; [unrolled: 2-line block ×3, first 2 shown]
	v_fmac_f64_e32 v[62:63], v[2:3], v[54:55]
	ds_store_b128 v43, v[64:67] offset:16
	ds_store_b128 v43, v[56:59] offset:32
	;; [unrolled: 1-line block ×3, first 2 shown]
.LBB25_30:                              ;   in Loop: Header=BB25_25 Depth=2
	s_and_not1_b32 vcc_lo, exec_lo, s13
	s_cbranch_vccnz .LBB25_32
; %bb.31:                               ;   in Loop: Header=BB25_25 Depth=2
	s_clause 0x2
	global_load_b128 v[44:47], v[20:21], off offset:16
	global_load_b128 v[48:51], v[20:21], off offset:32
	;; [unrolled: 1-line block ×3, first 2 shown]
	ds_load_b128 v[56:59], v43 offset:32
	ds_load_b128 v[60:63], v43 offset:48
	s_wait_loadcnt_dscnt 0x204
	v_fmac_f64_e32 v[10:11], v[2:3], v[44:45]
	v_fmac_f64_e32 v[12:13], v[4:5], v[44:45]
	s_wait_loadcnt_dscnt 0x101
	v_fmac_f64_e32 v[56:57], v[2:3], v[48:49]
	v_fmac_f64_e32 v[58:59], v[4:5], v[48:49]
	;; [unrolled: 3-line block ×3, first 2 shown]
	v_fma_f64 v[10:11], -v[4:5], v[46:47], v[10:11]
	v_fmac_f64_e32 v[12:13], v[2:3], v[46:47]
	v_fma_f64 v[56:57], -v[4:5], v[50:51], v[56:57]
	v_fmac_f64_e32 v[58:59], v[2:3], v[50:51]
	;; [unrolled: 2-line block ×3, first 2 shown]
	ds_store_b128 v43, v[10:13] offset:16
	ds_store_b128 v43, v[56:59] offset:32
	;; [unrolled: 1-line block ×3, first 2 shown]
.LBB25_32:                              ;   in Loop: Header=BB25_25 Depth=2
	s_wait_xcnt 0x0
	s_or_b32 exec_lo, exec_lo, s12
	s_mov_b32 s12, -1
	s_and_saveexec_b32 s13, s0
	s_cbranch_execz .LBB25_24
; %bb.33:                               ;   in Loop: Header=BB25_25 Depth=2
	v_add_nc_u32_e32 v28, 64, v28
	v_add_nc_u32_e32 v18, 0x100, v18
	s_delay_alu instid0(VALU_DEP_2)
	v_cmp_ge_i32_e32 vcc_lo, v28, v25
	s_or_not1_b32 s12, vcc_lo, exec_lo
	s_branch .LBB25_24
.LBB25_34:                              ;   in Loop: Header=BB25_9 Depth=1
	s_or_b32 exec_lo, exec_lo, s7
.LBB25_35:                              ;   in Loop: Header=BB25_9 Depth=1
	s_delay_alu instid0(SALU_CYCLE_1)
	s_or_b32 exec_lo, exec_lo, s6
	s_wait_dscnt 0x0
	ds_load_u8 v10, v40
	s_mov_b32 s6, exec_lo
	s_wait_dscnt 0x0
	v_and_b32_e32 v11, 1, v10
	v_cmp_ne_u16_e32 vcc_lo, 0, v10
	s_delay_alu instid0(VALU_DEP_2)
	v_cmpx_eq_u32_e32 1, v11
	s_cbranch_execz .LBB25_8
; %bb.36:                               ;   in Loop: Header=BB25_9 Depth=1
	ds_load_2addr_b64 v[10:13], v29 offset1:1
	ds_load_2addr_b64 v[44:47], v38 offset1:1
	;; [unrolled: 1-line block ×4, first 2 shown]
	v_dual_add_nc_u32 v20, v1, v30 :: v_dual_bitop2_b32 v18, vcc_lo, v0 bitop3:0x40
	s_delay_alu instid0(VALU_DEP_1) | instskip(NEXT) | instid1(VALU_DEP_1)
	v_bcnt_u32_b32 v18, v18, 0
	v_add3_u32 v18, v26, v18, -1
	s_delay_alu instid0(VALU_DEP_1)
	v_lshlrev_b32_e32 v21, 2, v18
	s_wait_kmcnt 0x0
	global_store_b32 v18, v20, s[16:17] scale_offset
	s_wait_dscnt 0x3
	global_store_b128 v21, v[10:13], s[18:19] scale_offset
	s_wait_dscnt 0x2
	global_store_b128 v21, v[44:47], s[18:19] offset:16 scale_offset
	s_wait_dscnt 0x1
	global_store_b128 v21, v[48:51], s[18:19] offset:32 scale_offset
	;; [unrolled: 2-line block ×3, first 2 shown]
	s_branch .LBB25_8
.LBB25_37:
	s_endpgm
	.section	.rodata,"a",@progbits
	.p2align	6, 0x0
	.amdhsa_kernel _ZN9rocsparseL39bsrgeam_wf_per_row_multipass_2_3_kernelILj256ELj2ELj64E21rocsparse_complex_numIdEEEv20rocsparse_direction_iiiNS_24const_host_device_scalarIT2_EEPKiS8_PKS5_S6_S8_S8_SA_S8_PiPS5_21rocsparse_index_base_SD_SD_b
		.amdhsa_group_segment_fixed_size 16640
		.amdhsa_private_segment_fixed_size 16
		.amdhsa_kernarg_size 136
		.amdhsa_user_sgpr_count 2
		.amdhsa_user_sgpr_dispatch_ptr 0
		.amdhsa_user_sgpr_queue_ptr 0
		.amdhsa_user_sgpr_kernarg_segment_ptr 1
		.amdhsa_user_sgpr_dispatch_id 0
		.amdhsa_user_sgpr_kernarg_preload_length 0
		.amdhsa_user_sgpr_kernarg_preload_offset 0
		.amdhsa_user_sgpr_private_segment_size 0
		.amdhsa_wavefront_size32 1
		.amdhsa_uses_dynamic_stack 0
		.amdhsa_enable_private_segment 1
		.amdhsa_system_sgpr_workgroup_id_x 1
		.amdhsa_system_sgpr_workgroup_id_y 0
		.amdhsa_system_sgpr_workgroup_id_z 0
		.amdhsa_system_sgpr_workgroup_info 0
		.amdhsa_system_vgpr_workitem_id 0
		.amdhsa_next_free_vgpr 68
		.amdhsa_next_free_sgpr 27
		.amdhsa_named_barrier_count 0
		.amdhsa_reserve_vcc 1
		.amdhsa_float_round_mode_32 0
		.amdhsa_float_round_mode_16_64 0
		.amdhsa_float_denorm_mode_32 3
		.amdhsa_float_denorm_mode_16_64 3
		.amdhsa_fp16_overflow 0
		.amdhsa_memory_ordered 1
		.amdhsa_forward_progress 1
		.amdhsa_inst_pref_size 19
		.amdhsa_round_robin_scheduling 0
		.amdhsa_exception_fp_ieee_invalid_op 0
		.amdhsa_exception_fp_denorm_src 0
		.amdhsa_exception_fp_ieee_div_zero 0
		.amdhsa_exception_fp_ieee_overflow 0
		.amdhsa_exception_fp_ieee_underflow 0
		.amdhsa_exception_fp_ieee_inexact 0
		.amdhsa_exception_int_div_zero 0
	.end_amdhsa_kernel
	.section	.text._ZN9rocsparseL39bsrgeam_wf_per_row_multipass_2_3_kernelILj256ELj2ELj64E21rocsparse_complex_numIdEEEv20rocsparse_direction_iiiNS_24const_host_device_scalarIT2_EEPKiS8_PKS5_S6_S8_S8_SA_S8_PiPS5_21rocsparse_index_base_SD_SD_b,"axG",@progbits,_ZN9rocsparseL39bsrgeam_wf_per_row_multipass_2_3_kernelILj256ELj2ELj64E21rocsparse_complex_numIdEEEv20rocsparse_direction_iiiNS_24const_host_device_scalarIT2_EEPKiS8_PKS5_S6_S8_S8_SA_S8_PiPS5_21rocsparse_index_base_SD_SD_b,comdat
.Lfunc_end25:
	.size	_ZN9rocsparseL39bsrgeam_wf_per_row_multipass_2_3_kernelILj256ELj2ELj64E21rocsparse_complex_numIdEEEv20rocsparse_direction_iiiNS_24const_host_device_scalarIT2_EEPKiS8_PKS5_S6_S8_S8_SA_S8_PiPS5_21rocsparse_index_base_SD_SD_b, .Lfunc_end25-_ZN9rocsparseL39bsrgeam_wf_per_row_multipass_2_3_kernelILj256ELj2ELj64E21rocsparse_complex_numIdEEEv20rocsparse_direction_iiiNS_24const_host_device_scalarIT2_EEPKiS8_PKS5_S6_S8_S8_SA_S8_PiPS5_21rocsparse_index_base_SD_SD_b
                                        ; -- End function
	.set _ZN9rocsparseL39bsrgeam_wf_per_row_multipass_2_3_kernelILj256ELj2ELj64E21rocsparse_complex_numIdEEEv20rocsparse_direction_iiiNS_24const_host_device_scalarIT2_EEPKiS8_PKS5_S6_S8_S8_SA_S8_PiPS5_21rocsparse_index_base_SD_SD_b.num_vgpr, 68
	.set _ZN9rocsparseL39bsrgeam_wf_per_row_multipass_2_3_kernelILj256ELj2ELj64E21rocsparse_complex_numIdEEEv20rocsparse_direction_iiiNS_24const_host_device_scalarIT2_EEPKiS8_PKS5_S6_S8_S8_SA_S8_PiPS5_21rocsparse_index_base_SD_SD_b.num_agpr, 0
	.set _ZN9rocsparseL39bsrgeam_wf_per_row_multipass_2_3_kernelILj256ELj2ELj64E21rocsparse_complex_numIdEEEv20rocsparse_direction_iiiNS_24const_host_device_scalarIT2_EEPKiS8_PKS5_S6_S8_S8_SA_S8_PiPS5_21rocsparse_index_base_SD_SD_b.numbered_sgpr, 27
	.set _ZN9rocsparseL39bsrgeam_wf_per_row_multipass_2_3_kernelILj256ELj2ELj64E21rocsparse_complex_numIdEEEv20rocsparse_direction_iiiNS_24const_host_device_scalarIT2_EEPKiS8_PKS5_S6_S8_S8_SA_S8_PiPS5_21rocsparse_index_base_SD_SD_b.num_named_barrier, 0
	.set _ZN9rocsparseL39bsrgeam_wf_per_row_multipass_2_3_kernelILj256ELj2ELj64E21rocsparse_complex_numIdEEEv20rocsparse_direction_iiiNS_24const_host_device_scalarIT2_EEPKiS8_PKS5_S6_S8_S8_SA_S8_PiPS5_21rocsparse_index_base_SD_SD_b.private_seg_size, 16
	.set _ZN9rocsparseL39bsrgeam_wf_per_row_multipass_2_3_kernelILj256ELj2ELj64E21rocsparse_complex_numIdEEEv20rocsparse_direction_iiiNS_24const_host_device_scalarIT2_EEPKiS8_PKS5_S6_S8_S8_SA_S8_PiPS5_21rocsparse_index_base_SD_SD_b.uses_vcc, 1
	.set _ZN9rocsparseL39bsrgeam_wf_per_row_multipass_2_3_kernelILj256ELj2ELj64E21rocsparse_complex_numIdEEEv20rocsparse_direction_iiiNS_24const_host_device_scalarIT2_EEPKiS8_PKS5_S6_S8_S8_SA_S8_PiPS5_21rocsparse_index_base_SD_SD_b.uses_flat_scratch, 0
	.set _ZN9rocsparseL39bsrgeam_wf_per_row_multipass_2_3_kernelILj256ELj2ELj64E21rocsparse_complex_numIdEEEv20rocsparse_direction_iiiNS_24const_host_device_scalarIT2_EEPKiS8_PKS5_S6_S8_S8_SA_S8_PiPS5_21rocsparse_index_base_SD_SD_b.has_dyn_sized_stack, 0
	.set _ZN9rocsparseL39bsrgeam_wf_per_row_multipass_2_3_kernelILj256ELj2ELj64E21rocsparse_complex_numIdEEEv20rocsparse_direction_iiiNS_24const_host_device_scalarIT2_EEPKiS8_PKS5_S6_S8_S8_SA_S8_PiPS5_21rocsparse_index_base_SD_SD_b.has_recursion, 0
	.set _ZN9rocsparseL39bsrgeam_wf_per_row_multipass_2_3_kernelILj256ELj2ELj64E21rocsparse_complex_numIdEEEv20rocsparse_direction_iiiNS_24const_host_device_scalarIT2_EEPKiS8_PKS5_S6_S8_S8_SA_S8_PiPS5_21rocsparse_index_base_SD_SD_b.has_indirect_call, 0
	.section	.AMDGPU.csdata,"",@progbits
; Kernel info:
; codeLenInByte = 2344
; TotalNumSgprs: 29
; NumVgprs: 68
; ScratchSize: 16
; MemoryBound: 0
; FloatMode: 240
; IeeeMode: 1
; LDSByteSize: 16640 bytes/workgroup (compile time only)
; SGPRBlocks: 0
; VGPRBlocks: 4
; NumSGPRsForWavesPerEU: 29
; NumVGPRsForWavesPerEU: 68
; NamedBarCnt: 0
; Occupancy: 12
; WaveLimiterHint : 1
; COMPUTE_PGM_RSRC2:SCRATCH_EN: 1
; COMPUTE_PGM_RSRC2:USER_SGPR: 2
; COMPUTE_PGM_RSRC2:TRAP_HANDLER: 0
; COMPUTE_PGM_RSRC2:TGID_X_EN: 1
; COMPUTE_PGM_RSRC2:TGID_Y_EN: 0
; COMPUTE_PGM_RSRC2:TGID_Z_EN: 0
; COMPUTE_PGM_RSRC2:TIDIG_COMP_CNT: 0
	.section	.text._ZN9rocsparseL39bsrgeam_wf_per_row_multipass_2_3_kernelILj256ELj3ELj32E21rocsparse_complex_numIdEEEv20rocsparse_direction_iiiNS_24const_host_device_scalarIT2_EEPKiS8_PKS5_S6_S8_S8_SA_S8_PiPS5_21rocsparse_index_base_SD_SD_b,"axG",@progbits,_ZN9rocsparseL39bsrgeam_wf_per_row_multipass_2_3_kernelILj256ELj3ELj32E21rocsparse_complex_numIdEEEv20rocsparse_direction_iiiNS_24const_host_device_scalarIT2_EEPKiS8_PKS5_S6_S8_S8_SA_S8_PiPS5_21rocsparse_index_base_SD_SD_b,comdat
	.globl	_ZN9rocsparseL39bsrgeam_wf_per_row_multipass_2_3_kernelILj256ELj3ELj32E21rocsparse_complex_numIdEEEv20rocsparse_direction_iiiNS_24const_host_device_scalarIT2_EEPKiS8_PKS5_S6_S8_S8_SA_S8_PiPS5_21rocsparse_index_base_SD_SD_b ; -- Begin function _ZN9rocsparseL39bsrgeam_wf_per_row_multipass_2_3_kernelILj256ELj3ELj32E21rocsparse_complex_numIdEEEv20rocsparse_direction_iiiNS_24const_host_device_scalarIT2_EEPKiS8_PKS5_S6_S8_S8_SA_S8_PiPS5_21rocsparse_index_base_SD_SD_b
	.p2align	8
	.type	_ZN9rocsparseL39bsrgeam_wf_per_row_multipass_2_3_kernelILj256ELj3ELj32E21rocsparse_complex_numIdEEEv20rocsparse_direction_iiiNS_24const_host_device_scalarIT2_EEPKiS8_PKS5_S6_S8_S8_SA_S8_PiPS5_21rocsparse_index_base_SD_SD_b,@function
_ZN9rocsparseL39bsrgeam_wf_per_row_multipass_2_3_kernelILj256ELj3ELj32E21rocsparse_complex_numIdEEEv20rocsparse_direction_iiiNS_24const_host_device_scalarIT2_EEPKiS8_PKS5_S6_S8_S8_SA_S8_PiPS5_21rocsparse_index_base_SD_SD_b: ; @_ZN9rocsparseL39bsrgeam_wf_per_row_multipass_2_3_kernelILj256ELj3ELj32E21rocsparse_complex_numIdEEEv20rocsparse_direction_iiiNS_24const_host_device_scalarIT2_EEPKiS8_PKS5_S6_S8_S8_SA_S8_PiPS5_21rocsparse_index_base_SD_SD_b
; %bb.0:
	s_clause 0x1
	s_load_b128 s[4:7], s[0:1], 0x78
	s_load_b128 s[8:11], s[0:1], 0x10
	v_mbcnt_lo_u32_b32 v10, -1, 0
	s_delay_alu instid0(VALU_DEP_1) | instskip(NEXT) | instid1(VALU_DEP_1)
	v_dual_mov_b32 v2, 0 :: v_dual_lshlrev_b32 v3, 20, v10
	v_add_nc_u64_e32 v[2:3], src_flat_scratch_base_lo, v[2:3]
	s_wait_kmcnt 0x0
	s_bitcmp1_b32 s7, 0
	v_mov_b64_e32 v[4:5], s[8:9]
	s_cselect_b32 s2, -1, 0
	v_mov_b64_e32 v[16:17], s[10:11]
	s_delay_alu instid0(VALU_DEP_3)
	v_cndmask_b32_e64 v3, s9, v3, s2
	v_cndmask_b32_e64 v2, s8, v2, s2
	s_and_b32 vcc_lo, exec_lo, s2
	scratch_store_b64 off, v[4:5], off
	flat_load_b64 v[14:15], v[2:3]
	s_cbranch_vccnz .LBB26_2
; %bb.1:
	v_mov_b32_e32 v1, 0
	flat_load_b64 v[16:17], v1, s[8:9] offset:8
.LBB26_2:
	s_load_b96 s[24:26], s[0:1], 0x0
	s_bfe_u32 s3, ttmp6, 0x4000c
	s_and_b32 s7, ttmp6, 15
	s_add_co_i32 s3, s3, 1
	s_getreg_b32 s8, hwreg(HW_REG_IB_STS2, 6, 4)
	s_mul_i32 s3, ttmp9, s3
	v_lshrrev_b32_e32 v11, 5, v0
	s_add_co_i32 s7, s7, s3
	s_cmp_eq_u32 s8, 0
	s_cselect_b32 s3, ttmp9, s7
	s_delay_alu instid0(SALU_CYCLE_1) | instskip(NEXT) | instid1(SALU_CYCLE_1)
	s_lshl_b32 s3, s3, 3
	v_and_or_b32 v1, 0x7fffff8, s3, v11
	s_mov_b32 s3, exec_lo
	s_wait_kmcnt 0x0
	s_delay_alu instid0(VALU_DEP_1)
	v_cmpx_gt_i32_e64 s25, v1
	s_cbranch_execz .LBB26_37
; %bb.3:
	s_clause 0x3
	s_load_b128 s[8:11], s[0:1], 0x20
	s_load_b64 s[16:17], s[0:1], 0x38
	s_load_b128 s[12:15], s[0:1], 0x48
	s_load_b64 s[18:19], s[0:1], 0x60
	v_dual_mov_b32 v18, 0 :: v_dual_lshlrev_b32 v13, 2, v1
	s_add_nc_u64 s[20:21], s[0:1], 56
	s_and_b32 s2, exec_lo, s2
	s_wait_kmcnt 0x0
	global_load_b64 v[6:7], v13, s[8:9]
	s_cselect_b32 s3, s21, s17
	s_cselect_b32 s2, s20, s16
	global_load_b64 v[8:9], v13, s[12:13]
	global_load_b32 v12, v1, s[18:19] scale_offset
	flat_load_b128 v[2:5], v18, s[2:3]
	s_wait_loadcnt 0x3
	s_wait_xcnt 0x2
	v_subrev_nc_u32_e32 v13, s4, v6
	v_cmp_lt_i32_e32 vcc_lo, v6, v7
	v_mov_b32_e32 v6, s26
	s_wait_xcnt 0x0
	s_and_saveexec_b32 s2, vcc_lo
	s_cbranch_execz .LBB26_5
; %bb.4:
	global_load_b32 v1, v13, s[10:11] scale_offset
	s_wait_loadcnt 0x0
	v_subrev_nc_u32_e32 v6, s4, v1
.LBB26_5:
	s_wait_xcnt 0x0
	s_or_b32 exec_lo, exec_lo, s2
	s_clause 0x2
	s_load_b128 s[16:19], s[0:1], 0x68
	s_load_b64 s[2:3], s[0:1], 0x58
	s_load_b64 s[8:9], s[0:1], 0x30
	s_wait_loadcnt 0x2
	v_subrev_nc_u32_e32 v23, s5, v8
	v_cmp_lt_i32_e32 vcc_lo, v8, v9
	v_mov_b32_e32 v8, s26
	s_wait_xcnt 0x0
	s_and_saveexec_b32 s0, vcc_lo
	s_cbranch_execz .LBB26_7
; %bb.6:
	global_load_b32 v1, v23, s[14:15] scale_offset
	s_wait_loadcnt 0x0
	v_subrev_nc_u32_e32 v8, s5, v1
.LBB26_7:
	s_wait_xcnt 0x0
	s_or_b32 exec_lo, exec_lo, s0
	s_delay_alu instid0(VALU_DEP_1)
	v_min_i32_e32 v35, v8, v6
	v_xor_b32_e32 v6, 16, v10
	v_subrev_nc_u32_e32 v19, s4, v7
	v_mul_u32_u24_e32 v18, 0x1200, v11
	v_xor_b32_e32 v28, 4, v10
	s_wait_loadcnt 0x1
	v_subrev_nc_u32_e32 v21, s6, v12
	v_cmp_gt_i32_e32 vcc_lo, 32, v6
	v_and_b32_e32 v40, 31, v0
	v_subrev_nc_u32_e32 v20, s5, v9
	s_cmp_lg_u32 s24, 0
	s_movk_i32 s0, 0xe0
	v_cndmask_b32_e32 v6, v10, v6, vcc_lo
	v_mul_u32_u24_e32 v7, 0x90, v40
	v_add_nc_u32_e32 v22, v13, v40
	s_mov_b32 s20, 0
	s_cselect_b32 s1, -1, 0
	s_cmp_eq_u32 s24, 0
	v_mad_u32_u24 v24, 0x1200, v11, v7
	v_xor_b32_e32 v11, 8, v10
	v_lshlrev_b32_e32 v26, 2, v6
	v_and_or_b32 v1, v0, s0, 0x9000
	v_bitop3_b32 v0, v0, 31, v0 bitop3:0xc
	v_add_nc_u32_e32 v6, 16, v24
	v_cmp_gt_i32_e32 vcc_lo, 32, v11
	v_add_nc_u32_e32 v12, 0x60, v24
	v_dual_add_nc_u32 v7, 32, v24 :: v_dual_add_nc_u32 v8, 48, v24
	v_dual_add_nc_u32 v27, 64, v24 :: v_dual_cndmask_b32 v11, v10, v11, vcc_lo
	v_cmp_gt_i32_e32 vcc_lo, 32, v28
	s_mov_b32 s21, s20
	s_mov_b32 s22, s20
	;; [unrolled: 1-line block ×3, first 2 shown]
	v_dual_add_nc_u32 v23, v23, v40 :: v_dual_add_nc_u32 v25, s6, v40
	v_dual_cndmask_b32 v31, v10, v28, vcc_lo :: v_dual_bitop2_b32 v29, 2, v10 bitop3:0x14
	v_lshrrev_b32_e64 v0, v0, -1
	v_dual_mov_b32 v41, 0 :: v_dual_add_nc_u32 v40, v1, v40
	v_mov_b32_e32 v42, 1
	s_delay_alu instid0(VALU_DEP_4) | instskip(SKIP_2) | instid1(VALU_DEP_1)
	v_cmp_gt_i32_e32 vcc_lo, 32, v29
	v_dual_cndmask_b32 v32, v10, v29 :: v_dual_add_nc_u32 v9, 0x50, v24
	v_dual_lshlrev_b32 v29, 2, v11 :: v_dual_bitop2_b32 v30, 1, v10 bitop3:0x14
	v_cmp_gt_i32_e32 vcc_lo, 32, v30
	v_dual_cndmask_b32 v10, v10, v30 :: v_dual_add_nc_u32 v13, 0x70, v24
	s_cselect_b32 vcc_lo, -1, 0
	v_dual_cndmask_b32 v33, v8, v6 :: v_dual_add_nc_u32 v28, 0x80, v24
	v_dual_lshlrev_b32 v30, 2, v31 :: v_dual_lshlrev_b32 v31, 2, v32
	s_delay_alu instid0(VALU_DEP_3)
	v_dual_lshlrev_b32 v32, 2, v10 :: v_dual_cndmask_b32 v34, v12, v7, vcc_lo
	v_dual_cndmask_b32 v36, v6, v8 :: v_dual_cndmask_b32 v37, v13, v9
	v_dual_cndmask_b32 v38, v7, v12 :: v_dual_cndmask_b32 v39, v9, v13
	v_mov_b64_e32 v[6:7], s[20:21]
	v_mov_b64_e32 v[8:9], s[22:23]
	s_branch .LBB26_9
.LBB26_8:                               ;   in Loop: Header=BB26_9 Depth=1
	s_wait_xcnt 0x0
	s_or_b32 exec_lo, exec_lo, s6
	ds_bpermute_b32 v10, v26, v43
	s_bcnt1_i32_b32 s6, vcc_lo
	s_wait_dscnt 0x0
	v_dual_add_nc_u32 v21, s6, v21 :: v_dual_min_i32 v10, v10, v43
	ds_bpermute_b32 v11, v29, v10
	s_wait_dscnt 0x0
	v_min_i32_e32 v10, v11, v10
	ds_bpermute_b32 v11, v30, v10
	s_wait_dscnt 0x0
	v_min_i32_e32 v10, v11, v10
	ds_bpermute_b32 v11, v31, v10
	s_wait_dscnt 0x0
	v_min_i32_e32 v10, v11, v10
	ds_bpermute_b32 v11, v32, v10
	s_wait_dscnt 0x0
	v_min_i32_e32 v35, v11, v10
	s_delay_alu instid0(VALU_DEP_1) | instskip(SKIP_1) | instid1(SALU_CYCLE_1)
	v_cmp_le_i32_e64 s0, s26, v35
	s_or_b32 s20, s0, s20
	s_and_not1_b32 exec_lo, exec_lo, s20
	s_cbranch_execz .LBB26_37
.LBB26_9:                               ; =>This Loop Header: Depth=1
                                        ;     Child Loop BB26_12 Depth 2
                                        ;     Child Loop BB26_25 Depth 2
	v_mov_b32_e32 v43, s26
	s_mov_b32 s6, exec_lo
	ds_store_b128 v24, v[6:9]
	ds_store_b128 v24, v[6:9] offset:16
	ds_store_b128 v24, v[6:9] offset:32
	;; [unrolled: 1-line block ×7, first 2 shown]
	ds_store_b8 v40, v41
	ds_store_b128 v24, v[6:9] offset:128
	s_wait_storecnt 0x0
	s_wait_loadcnt_dscnt 0x0
	v_cmpx_lt_i32_e64 v22, v19
	s_cbranch_execz .LBB26_22
; %bb.10:                               ;   in Loop: Header=BB26_9 Depth=1
	v_mad_u32 v10, v22, 9, 8
	v_mov_b32_e32 v43, s26
	s_mov_b32 s7, 0
	s_branch .LBB26_12
.LBB26_11:                              ;   in Loop: Header=BB26_12 Depth=2
	s_or_b32 exec_lo, exec_lo, s13
	s_delay_alu instid0(SALU_CYCLE_1) | instskip(NEXT) | instid1(SALU_CYCLE_1)
	s_and_b32 s0, exec_lo, s12
	s_or_b32 s7, s0, s7
	s_delay_alu instid0(SALU_CYCLE_1)
	s_and_not1_b32 exec_lo, exec_lo, s7
	s_cbranch_execz .LBB26_21
.LBB26_12:                              ;   Parent Loop BB26_9 Depth=1
                                        ; =>  This Inner Loop Header: Depth=2
	global_load_b32 v11, v22, s[10:11] scale_offset
	s_mov_b32 s12, exec_lo
	s_wait_loadcnt 0x0
	v_subrev_nc_u32_e32 v12, s4, v11
	s_delay_alu instid0(VALU_DEP_1) | instskip(NEXT) | instid1(VALU_DEP_1)
	v_sub_nc_u32_e32 v11, v12, v35
	v_cmp_gt_u32_e64 s0, 32, v11
	s_wait_xcnt 0x0
	v_cmpx_lt_u32_e32 31, v11
	s_xor_b32 s12, exec_lo, s12
; %bb.13:                               ;   in Loop: Header=BB26_12 Depth=2
	v_min_i32_e32 v43, v12, v43
                                        ; implicit-def: $vgpr11
; %bb.14:                               ;   in Loop: Header=BB26_12 Depth=2
	s_and_not1_saveexec_b32 s12, s12
	s_cbranch_execz .LBB26_19
; %bb.15:                               ;   in Loop: Header=BB26_12 Depth=2
	v_dual_add_nc_u32 v12, -8, v10 :: v_dual_add_nc_u32 v13, -1, v10
	v_add_nc_u32_e32 v48, -6, v10
	s_mov_b32 s13, -1
	s_and_not1_b32 vcc_lo, exec_lo, s1
	s_wait_kmcnt 0x0
	global_load_b128 v[44:47], v12, s[8:9] scale_offset
	s_wait_xcnt 0x0
	v_mul_lo_u32 v12, 0x90, v11
	s_delay_alu instid0(VALU_DEP_1) | instskip(SKIP_4) | instid1(VALU_DEP_3)
	v_dual_add_nc_u32 v49, v1, v11 :: v_dual_add_nc_u32 v11, v18, v12
	s_wait_loadcnt 0x0
	v_dual_mul_f64 v[50:51], v[46:47], -v[16:17] :: v_dual_add_nc_u32 v12, -2, v10
	v_mul_f64_e32 v[52:53], v[14:15], v[46:47]
	v_dual_add_nc_u32 v47, -7, v10 :: v_dual_add_nc_u32 v46, -3, v10
	v_fmac_f64_e32 v[50:51], v[14:15], v[44:45]
	s_delay_alu instid0(VALU_DEP_3)
	v_fmac_f64_e32 v[52:53], v[16:17], v[44:45]
	v_dual_add_nc_u32 v44, -5, v10 :: v_dual_add_nc_u32 v45, -4, v10
	ds_store_b8 v49, v42
	ds_store_b128 v11, v[50:53]
	s_cbranch_vccnz .LBB26_17
; %bb.16:                               ;   in Loop: Header=BB26_12 Depth=2
	s_clause 0x7
	global_load_b128 v[50:53], v44, s[8:9] scale_offset
	global_load_b128 v[54:57], v12, s[8:9] scale_offset
	;; [unrolled: 1-line block ×8, first 2 shown]
	s_mov_b32 s13, 0
	s_wait_loadcnt 0x7
	v_mul_f64_e64 v[82:83], v[52:53], -v[16:17]
	v_mul_f64_e32 v[84:85], v[14:15], v[52:53]
	s_wait_loadcnt 0x6
	v_mul_f64_e64 v[86:87], v[56:57], -v[16:17]
	v_mul_f64_e32 v[88:89], v[14:15], v[56:57]
	;; [unrolled: 3-line block ×8, first 2 shown]
	v_fmac_f64_e32 v[82:83], v[14:15], v[50:51]
	v_fmac_f64_e32 v[84:85], v[16:17], v[50:51]
	;; [unrolled: 1-line block ×16, first 2 shown]
	ds_store_b128 v11, v[82:85] offset:16
	ds_store_b128 v11, v[86:89] offset:32
	;; [unrolled: 1-line block ×8, first 2 shown]
.LBB26_17:                              ;   in Loop: Header=BB26_12 Depth=2
	s_and_not1_b32 vcc_lo, exec_lo, s13
	s_cbranch_vccnz .LBB26_19
; %bb.18:                               ;   in Loop: Header=BB26_12 Depth=2
	s_clause 0x7
	global_load_b128 v[50:53], v47, s[8:9] scale_offset
	global_load_b128 v[54:57], v48, s[8:9] scale_offset
	;; [unrolled: 1-line block ×8, first 2 shown]
	s_wait_loadcnt 0x7
	s_wait_xcnt 0x4
	v_mul_f64_e64 v[44:45], v[52:53], -v[16:17]
	s_wait_xcnt 0x3
	v_mul_f64_e32 v[46:47], v[14:15], v[52:53]
	s_wait_loadcnt 0x6
	v_mul_f64_e64 v[82:83], v[56:57], -v[16:17]
	v_mul_f64_e32 v[84:85], v[14:15], v[56:57]
	s_wait_loadcnt 0x5
	v_mul_f64_e64 v[86:87], v[60:61], -v[16:17]
	;; [unrolled: 3-line block ×7, first 2 shown]
	v_mul_f64_e32 v[108:109], v[14:15], v[80:81]
	v_fmac_f64_e32 v[44:45], v[14:15], v[50:51]
	v_fmac_f64_e32 v[46:47], v[16:17], v[50:51]
	;; [unrolled: 1-line block ×16, first 2 shown]
	ds_store_b128 v11, v[44:47] offset:16
	ds_store_b128 v11, v[82:85] offset:32
	ds_store_b128 v11, v[86:89] offset:48
	ds_store_b128 v11, v[90:93] offset:64
	ds_store_b128 v11, v[94:97] offset:80
	ds_store_b128 v11, v[98:101] offset:96
	ds_store_b128 v11, v[102:105] offset:112
	ds_store_b128 v11, v[106:109] offset:128
.LBB26_19:                              ;   in Loop: Header=BB26_12 Depth=2
	s_or_b32 exec_lo, exec_lo, s12
	s_mov_b32 s12, -1
	s_and_saveexec_b32 s13, s0
	s_cbranch_execz .LBB26_11
; %bb.20:                               ;   in Loop: Header=BB26_12 Depth=2
	v_add_nc_u32_e32 v22, 32, v22
	v_add_nc_u32_e32 v10, 0x120, v10
	s_delay_alu instid0(VALU_DEP_2)
	v_cmp_ge_i32_e32 vcc_lo, v22, v19
	s_or_not1_b32 s12, vcc_lo, exec_lo
	s_branch .LBB26_11
.LBB26_21:                              ;   in Loop: Header=BB26_9 Depth=1
	s_or_b32 exec_lo, exec_lo, s7
.LBB26_22:                              ;   in Loop: Header=BB26_9 Depth=1
	s_delay_alu instid0(SALU_CYCLE_1) | instskip(NEXT) | instid1(SALU_CYCLE_1)
	s_or_b32 exec_lo, exec_lo, s6
	s_mov_b32 s6, exec_lo
	s_wait_dscnt 0x0
	v_cmpx_lt_i32_e64 v23, v20
	s_cbranch_execz .LBB26_35
; %bb.23:                               ;   in Loop: Header=BB26_9 Depth=1
	v_mad_u32 v44, v23, 9, 8
	s_mov_b32 s7, 0
	s_branch .LBB26_25
.LBB26_24:                              ;   in Loop: Header=BB26_25 Depth=2
	s_or_b32 exec_lo, exec_lo, s13
	s_delay_alu instid0(SALU_CYCLE_1) | instskip(NEXT) | instid1(SALU_CYCLE_1)
	s_and_b32 s0, exec_lo, s12
	s_or_b32 s7, s0, s7
	s_delay_alu instid0(SALU_CYCLE_1)
	s_and_not1_b32 exec_lo, exec_lo, s7
	s_cbranch_execz .LBB26_34
.LBB26_25:                              ;   Parent Loop BB26_9 Depth=1
                                        ; =>  This Inner Loop Header: Depth=2
	s_wait_dscnt 0x2
	global_load_b32 v10, v23, s[14:15] scale_offset
	s_mov_b32 s12, exec_lo
	s_wait_loadcnt 0x0
	v_subrev_nc_u32_e32 v10, s5, v10
	s_delay_alu instid0(VALU_DEP_1) | instskip(NEXT) | instid1(VALU_DEP_1)
	v_sub_nc_u32_e32 v46, v10, v35
	v_cmp_gt_u32_e64 s0, 32, v46
	s_wait_xcnt 0x0
	v_cmpx_lt_u32_e32 31, v46
	s_xor_b32 s12, exec_lo, s12
; %bb.26:                               ;   in Loop: Header=BB26_25 Depth=2
	v_min_i32_e32 v43, v10, v43
                                        ; implicit-def: $vgpr46
; %bb.27:                               ;   in Loop: Header=BB26_25 Depth=2
	s_and_not1_saveexec_b32 s12, s12
	s_cbranch_execz .LBB26_32
; %bb.28:                               ;   in Loop: Header=BB26_25 Depth=2
	v_dual_add_nc_u32 v10, -8, v44 :: v_dual_add_nc_u32 v53, v1, v46
	v_add_nc_u32_e32 v52, -1, v44
	s_mov_b32 s13, -1
	s_and_not1_b32 vcc_lo, exec_lo, s1
	s_wait_kmcnt 0x0
	global_load_b128 v[48:51], v10, s[2:3] scale_offset
	s_wait_xcnt 0x0
	v_mul_lo_u32 v10, 0x90, v46
	v_dual_add_nc_u32 v46, -2, v44 :: v_dual_add_nc_u32 v47, -5, v44
	s_delay_alu instid0(VALU_DEP_2)
	v_add_nc_u32_e32 v45, v18, v10
	ds_load_b128 v[54:57], v45
	ds_load_b128 v[10:13], v45 offset:16
	s_wait_loadcnt_dscnt 0x1
	v_fmac_f64_e32 v[54:55], v[2:3], v[48:49]
	v_fmac_f64_e32 v[56:57], v[4:5], v[48:49]
	v_dual_add_nc_u32 v49, -3, v44 :: v_dual_add_nc_u32 v48, -4, v44
	s_delay_alu instid0(VALU_DEP_3) | instskip(NEXT) | instid1(VALU_DEP_3)
	v_fma_f64 v[54:55], -v[4:5], v[50:51], v[54:55]
	v_fmac_f64_e32 v[56:57], v[2:3], v[50:51]
	v_dual_add_nc_u32 v50, -7, v44 :: v_dual_add_nc_u32 v51, -6, v44
	ds_store_b8 v53, v42
	ds_store_b128 v45, v[54:57]
	s_cbranch_vccnz .LBB26_30
; %bb.29:                               ;   in Loop: Header=BB26_25 Depth=2
	s_clause 0x7
	global_load_b128 v[54:57], v47, s[2:3] scale_offset
	global_load_b128 v[58:61], v46, s[2:3] scale_offset
	global_load_b128 v[62:65], v50, s[2:3] scale_offset
	global_load_b128 v[66:69], v48, s[2:3] scale_offset
	global_load_b128 v[70:73], v52, s[2:3] scale_offset
	global_load_b128 v[74:77], v51, s[2:3] scale_offset
	global_load_b128 v[78:81], v49, s[2:3] scale_offset
	global_load_b128 v[82:85], v44, s[2:3] scale_offset
	ds_load_b128 v[86:89], v45 offset:32
	ds_load_b128 v[90:93], v45 offset:48
	;; [unrolled: 1-line block ×7, first 2 shown]
	s_mov_b32 s13, 0
	s_wait_loadcnt_dscnt 0x709
	v_fma_f64 v[114:115], v[2:3], v[54:55], v[10:11]
	v_fma_f64 v[116:117], v[4:5], v[54:55], v[12:13]
	s_wait_loadcnt_dscnt 0x606
	v_fmac_f64_e32 v[86:87], v[2:3], v[58:59]
	v_fmac_f64_e32 v[88:89], v[4:5], v[58:59]
	s_wait_loadcnt_dscnt 0x505
	v_fmac_f64_e32 v[90:91], v[2:3], v[62:63]
	v_fmac_f64_e32 v[92:93], v[4:5], v[62:63]
	;; [unrolled: 3-line block ×7, first 2 shown]
	v_fma_f64 v[114:115], -v[4:5], v[56:57], v[114:115]
	v_fmac_f64_e32 v[116:117], v[2:3], v[56:57]
	v_fma_f64 v[86:87], -v[4:5], v[60:61], v[86:87]
	v_fmac_f64_e32 v[88:89], v[2:3], v[60:61]
	;; [unrolled: 2-line block ×8, first 2 shown]
	ds_store_b128 v45, v[114:117] offset:16
	ds_store_b128 v45, v[86:89] offset:32
	;; [unrolled: 1-line block ×8, first 2 shown]
.LBB26_30:                              ;   in Loop: Header=BB26_25 Depth=2
	s_and_not1_b32 vcc_lo, exec_lo, s13
	s_cbranch_vccnz .LBB26_32
; %bb.31:                               ;   in Loop: Header=BB26_25 Depth=2
	s_clause 0x7
	global_load_b128 v[54:57], v50, s[2:3] scale_offset
	global_load_b128 v[58:61], v51, s[2:3] scale_offset
	;; [unrolled: 1-line block ×8, first 2 shown]
	s_wait_xcnt 0x2
	ds_load_b128 v[46:49], v45 offset:32
	s_wait_xcnt 0x1
	ds_load_b128 v[50:53], v45 offset:48
	ds_load_b128 v[86:89], v45 offset:64
	;; [unrolled: 1-line block ×6, first 2 shown]
	s_wait_loadcnt_dscnt 0x709
	v_fmac_f64_e32 v[10:11], v[2:3], v[54:55]
	v_fmac_f64_e32 v[12:13], v[4:5], v[54:55]
	s_wait_loadcnt_dscnt 0x606
	v_fmac_f64_e32 v[46:47], v[2:3], v[58:59]
	v_fmac_f64_e32 v[48:49], v[4:5], v[58:59]
	;; [unrolled: 3-line block ×8, first 2 shown]
	v_fma_f64 v[10:11], -v[4:5], v[56:57], v[10:11]
	v_fmac_f64_e32 v[12:13], v[2:3], v[56:57]
	v_fma_f64 v[46:47], -v[4:5], v[60:61], v[46:47]
	v_fmac_f64_e32 v[48:49], v[2:3], v[60:61]
	v_fma_f64 v[50:51], -v[4:5], v[64:65], v[50:51]
	v_fmac_f64_e32 v[52:53], v[2:3], v[64:65]
	v_fma_f64 v[86:87], -v[4:5], v[68:69], v[86:87]
	v_fmac_f64_e32 v[88:89], v[2:3], v[68:69]
	v_fma_f64 v[90:91], -v[4:5], v[72:73], v[90:91]
	v_fmac_f64_e32 v[92:93], v[2:3], v[72:73]
	v_fma_f64 v[94:95], -v[4:5], v[76:77], v[94:95]
	v_fmac_f64_e32 v[96:97], v[2:3], v[76:77]
	v_fma_f64 v[98:99], -v[4:5], v[80:81], v[98:99]
	v_fmac_f64_e32 v[100:101], v[2:3], v[80:81]
	v_fma_f64 v[102:103], -v[4:5], v[84:85], v[102:103]
	v_fmac_f64_e32 v[104:105], v[2:3], v[84:85]
	ds_store_b128 v45, v[10:13] offset:16
	ds_store_b128 v45, v[46:49] offset:32
	;; [unrolled: 1-line block ×8, first 2 shown]
.LBB26_32:                              ;   in Loop: Header=BB26_25 Depth=2
	s_or_b32 exec_lo, exec_lo, s12
	s_mov_b32 s12, -1
	s_and_saveexec_b32 s13, s0
	s_cbranch_execz .LBB26_24
; %bb.33:                               ;   in Loop: Header=BB26_25 Depth=2
	v_add_nc_u32_e32 v23, 32, v23
	v_add_nc_u32_e32 v44, 0x120, v44
	s_delay_alu instid0(VALU_DEP_2)
	v_cmp_ge_i32_e32 vcc_lo, v23, v20
	s_or_not1_b32 s12, vcc_lo, exec_lo
	s_branch .LBB26_24
.LBB26_34:                              ;   in Loop: Header=BB26_9 Depth=1
	s_or_b32 exec_lo, exec_lo, s7
.LBB26_35:                              ;   in Loop: Header=BB26_9 Depth=1
	s_delay_alu instid0(SALU_CYCLE_1)
	s_or_b32 exec_lo, exec_lo, s6
	s_wait_dscnt 0x0
	ds_load_u8 v10, v40
	s_mov_b32 s6, exec_lo
	s_wait_dscnt 0x0
	v_and_b32_e32 v11, 1, v10
	v_cmp_ne_u16_e32 vcc_lo, 0, v10
	s_delay_alu instid0(VALU_DEP_2)
	v_cmpx_eq_u32_e32 1, v11
	s_cbranch_execz .LBB26_8
; %bb.36:                               ;   in Loop: Header=BB26_9 Depth=1
	v_dual_add_nc_u32 v35, v25, v35 :: v_dual_bitop2_b32 v10, vcc_lo, v0 bitop3:0x40
	s_delay_alu instid0(VALU_DEP_1)
	v_bcnt_u32_b32 v56, v10, 0
	ds_load_2addr_b64 v[10:13], v24 offset1:1
	ds_load_2addr_b64 v[44:47], v33 offset1:1
	;; [unrolled: 1-line block ×4, first 2 shown]
	v_add3_u32 v76, v21, v56, -1
	ds_load_2addr_b64 v[56:59], v27 offset1:1
	ds_load_2addr_b64 v[60:63], v37 offset1:1
	;; [unrolled: 1-line block ×5, first 2 shown]
	v_lshl_add_u32 v77, v76, 3, v76
	s_wait_kmcnt 0x0
	global_store_b32 v76, v35, s[16:17] scale_offset
	s_wait_xcnt 0x0
	v_dual_add_nc_u32 v35, 1, v77 :: v_dual_add_nc_u32 v76, 2, v77
	v_dual_add_nc_u32 v78, 3, v77 :: v_dual_add_nc_u32 v79, 4, v77
	;; [unrolled: 1-line block ×4, first 2 shown]
	s_wait_dscnt 0x8
	global_store_b128 v77, v[10:13], s[18:19] scale_offset
	s_wait_dscnt 0x7
	global_store_b128 v35, v[44:47], s[18:19] scale_offset
	;; [unrolled: 2-line block ×9, first 2 shown]
	s_branch .LBB26_8
.LBB26_37:
	s_endpgm
	.section	.rodata,"a",@progbits
	.p2align	6, 0x0
	.amdhsa_kernel _ZN9rocsparseL39bsrgeam_wf_per_row_multipass_2_3_kernelILj256ELj3ELj32E21rocsparse_complex_numIdEEEv20rocsparse_direction_iiiNS_24const_host_device_scalarIT2_EEPKiS8_PKS5_S6_S8_S8_SA_S8_PiPS5_21rocsparse_index_base_SD_SD_b
		.amdhsa_group_segment_fixed_size 37120
		.amdhsa_private_segment_fixed_size 16
		.amdhsa_kernarg_size 136
		.amdhsa_user_sgpr_count 2
		.amdhsa_user_sgpr_dispatch_ptr 0
		.amdhsa_user_sgpr_queue_ptr 0
		.amdhsa_user_sgpr_kernarg_segment_ptr 1
		.amdhsa_user_sgpr_dispatch_id 0
		.amdhsa_user_sgpr_kernarg_preload_length 0
		.amdhsa_user_sgpr_kernarg_preload_offset 0
		.amdhsa_user_sgpr_private_segment_size 0
		.amdhsa_wavefront_size32 1
		.amdhsa_uses_dynamic_stack 0
		.amdhsa_enable_private_segment 1
		.amdhsa_system_sgpr_workgroup_id_x 1
		.amdhsa_system_sgpr_workgroup_id_y 0
		.amdhsa_system_sgpr_workgroup_id_z 0
		.amdhsa_system_sgpr_workgroup_info 0
		.amdhsa_system_vgpr_workitem_id 0
		.amdhsa_next_free_vgpr 118
		.amdhsa_next_free_sgpr 27
		.amdhsa_named_barrier_count 0
		.amdhsa_reserve_vcc 1
		.amdhsa_float_round_mode_32 0
		.amdhsa_float_round_mode_16_64 0
		.amdhsa_float_denorm_mode_32 3
		.amdhsa_float_denorm_mode_16_64 3
		.amdhsa_fp16_overflow 0
		.amdhsa_memory_ordered 1
		.amdhsa_forward_progress 1
		.amdhsa_inst_pref_size 29
		.amdhsa_round_robin_scheduling 0
		.amdhsa_exception_fp_ieee_invalid_op 0
		.amdhsa_exception_fp_denorm_src 0
		.amdhsa_exception_fp_ieee_div_zero 0
		.amdhsa_exception_fp_ieee_overflow 0
		.amdhsa_exception_fp_ieee_underflow 0
		.amdhsa_exception_fp_ieee_inexact 0
		.amdhsa_exception_int_div_zero 0
	.end_amdhsa_kernel
	.section	.text._ZN9rocsparseL39bsrgeam_wf_per_row_multipass_2_3_kernelILj256ELj3ELj32E21rocsparse_complex_numIdEEEv20rocsparse_direction_iiiNS_24const_host_device_scalarIT2_EEPKiS8_PKS5_S6_S8_S8_SA_S8_PiPS5_21rocsparse_index_base_SD_SD_b,"axG",@progbits,_ZN9rocsparseL39bsrgeam_wf_per_row_multipass_2_3_kernelILj256ELj3ELj32E21rocsparse_complex_numIdEEEv20rocsparse_direction_iiiNS_24const_host_device_scalarIT2_EEPKiS8_PKS5_S6_S8_S8_SA_S8_PiPS5_21rocsparse_index_base_SD_SD_b,comdat
.Lfunc_end26:
	.size	_ZN9rocsparseL39bsrgeam_wf_per_row_multipass_2_3_kernelILj256ELj3ELj32E21rocsparse_complex_numIdEEEv20rocsparse_direction_iiiNS_24const_host_device_scalarIT2_EEPKiS8_PKS5_S6_S8_S8_SA_S8_PiPS5_21rocsparse_index_base_SD_SD_b, .Lfunc_end26-_ZN9rocsparseL39bsrgeam_wf_per_row_multipass_2_3_kernelILj256ELj3ELj32E21rocsparse_complex_numIdEEEv20rocsparse_direction_iiiNS_24const_host_device_scalarIT2_EEPKiS8_PKS5_S6_S8_S8_SA_S8_PiPS5_21rocsparse_index_base_SD_SD_b
                                        ; -- End function
	.set _ZN9rocsparseL39bsrgeam_wf_per_row_multipass_2_3_kernelILj256ELj3ELj32E21rocsparse_complex_numIdEEEv20rocsparse_direction_iiiNS_24const_host_device_scalarIT2_EEPKiS8_PKS5_S6_S8_S8_SA_S8_PiPS5_21rocsparse_index_base_SD_SD_b.num_vgpr, 118
	.set _ZN9rocsparseL39bsrgeam_wf_per_row_multipass_2_3_kernelILj256ELj3ELj32E21rocsparse_complex_numIdEEEv20rocsparse_direction_iiiNS_24const_host_device_scalarIT2_EEPKiS8_PKS5_S6_S8_S8_SA_S8_PiPS5_21rocsparse_index_base_SD_SD_b.num_agpr, 0
	.set _ZN9rocsparseL39bsrgeam_wf_per_row_multipass_2_3_kernelILj256ELj3ELj32E21rocsparse_complex_numIdEEEv20rocsparse_direction_iiiNS_24const_host_device_scalarIT2_EEPKiS8_PKS5_S6_S8_S8_SA_S8_PiPS5_21rocsparse_index_base_SD_SD_b.numbered_sgpr, 27
	.set _ZN9rocsparseL39bsrgeam_wf_per_row_multipass_2_3_kernelILj256ELj3ELj32E21rocsparse_complex_numIdEEEv20rocsparse_direction_iiiNS_24const_host_device_scalarIT2_EEPKiS8_PKS5_S6_S8_S8_SA_S8_PiPS5_21rocsparse_index_base_SD_SD_b.num_named_barrier, 0
	.set _ZN9rocsparseL39bsrgeam_wf_per_row_multipass_2_3_kernelILj256ELj3ELj32E21rocsparse_complex_numIdEEEv20rocsparse_direction_iiiNS_24const_host_device_scalarIT2_EEPKiS8_PKS5_S6_S8_S8_SA_S8_PiPS5_21rocsparse_index_base_SD_SD_b.private_seg_size, 16
	.set _ZN9rocsparseL39bsrgeam_wf_per_row_multipass_2_3_kernelILj256ELj3ELj32E21rocsparse_complex_numIdEEEv20rocsparse_direction_iiiNS_24const_host_device_scalarIT2_EEPKiS8_PKS5_S6_S8_S8_SA_S8_PiPS5_21rocsparse_index_base_SD_SD_b.uses_vcc, 1
	.set _ZN9rocsparseL39bsrgeam_wf_per_row_multipass_2_3_kernelILj256ELj3ELj32E21rocsparse_complex_numIdEEEv20rocsparse_direction_iiiNS_24const_host_device_scalarIT2_EEPKiS8_PKS5_S6_S8_S8_SA_S8_PiPS5_21rocsparse_index_base_SD_SD_b.uses_flat_scratch, 0
	.set _ZN9rocsparseL39bsrgeam_wf_per_row_multipass_2_3_kernelILj256ELj3ELj32E21rocsparse_complex_numIdEEEv20rocsparse_direction_iiiNS_24const_host_device_scalarIT2_EEPKiS8_PKS5_S6_S8_S8_SA_S8_PiPS5_21rocsparse_index_base_SD_SD_b.has_dyn_sized_stack, 0
	.set _ZN9rocsparseL39bsrgeam_wf_per_row_multipass_2_3_kernelILj256ELj3ELj32E21rocsparse_complex_numIdEEEv20rocsparse_direction_iiiNS_24const_host_device_scalarIT2_EEPKiS8_PKS5_S6_S8_S8_SA_S8_PiPS5_21rocsparse_index_base_SD_SD_b.has_recursion, 0
	.set _ZN9rocsparseL39bsrgeam_wf_per_row_multipass_2_3_kernelILj256ELj3ELj32E21rocsparse_complex_numIdEEEv20rocsparse_direction_iiiNS_24const_host_device_scalarIT2_EEPKiS8_PKS5_S6_S8_S8_SA_S8_PiPS5_21rocsparse_index_base_SD_SD_b.has_indirect_call, 0
	.section	.AMDGPU.csdata,"",@progbits
; Kernel info:
; codeLenInByte = 3680
; TotalNumSgprs: 29
; NumVgprs: 118
; ScratchSize: 16
; MemoryBound: 0
; FloatMode: 240
; IeeeMode: 1
; LDSByteSize: 37120 bytes/workgroup (compile time only)
; SGPRBlocks: 0
; VGPRBlocks: 7
; NumSGPRsForWavesPerEU: 29
; NumVGPRsForWavesPerEU: 118
; NamedBarCnt: 0
; Occupancy: 8
; WaveLimiterHint : 1
; COMPUTE_PGM_RSRC2:SCRATCH_EN: 1
; COMPUTE_PGM_RSRC2:USER_SGPR: 2
; COMPUTE_PGM_RSRC2:TRAP_HANDLER: 0
; COMPUTE_PGM_RSRC2:TGID_X_EN: 1
; COMPUTE_PGM_RSRC2:TGID_Y_EN: 0
; COMPUTE_PGM_RSRC2:TGID_Z_EN: 0
; COMPUTE_PGM_RSRC2:TIDIG_COMP_CNT: 0
	.section	.text._ZN9rocsparseL39bsrgeam_wf_per_row_multipass_2_3_kernelILj256ELj3ELj64E21rocsparse_complex_numIdEEEv20rocsparse_direction_iiiNS_24const_host_device_scalarIT2_EEPKiS8_PKS5_S6_S8_S8_SA_S8_PiPS5_21rocsparse_index_base_SD_SD_b,"axG",@progbits,_ZN9rocsparseL39bsrgeam_wf_per_row_multipass_2_3_kernelILj256ELj3ELj64E21rocsparse_complex_numIdEEEv20rocsparse_direction_iiiNS_24const_host_device_scalarIT2_EEPKiS8_PKS5_S6_S8_S8_SA_S8_PiPS5_21rocsparse_index_base_SD_SD_b,comdat
	.globl	_ZN9rocsparseL39bsrgeam_wf_per_row_multipass_2_3_kernelILj256ELj3ELj64E21rocsparse_complex_numIdEEEv20rocsparse_direction_iiiNS_24const_host_device_scalarIT2_EEPKiS8_PKS5_S6_S8_S8_SA_S8_PiPS5_21rocsparse_index_base_SD_SD_b ; -- Begin function _ZN9rocsparseL39bsrgeam_wf_per_row_multipass_2_3_kernelILj256ELj3ELj64E21rocsparse_complex_numIdEEEv20rocsparse_direction_iiiNS_24const_host_device_scalarIT2_EEPKiS8_PKS5_S6_S8_S8_SA_S8_PiPS5_21rocsparse_index_base_SD_SD_b
	.p2align	8
	.type	_ZN9rocsparseL39bsrgeam_wf_per_row_multipass_2_3_kernelILj256ELj3ELj64E21rocsparse_complex_numIdEEEv20rocsparse_direction_iiiNS_24const_host_device_scalarIT2_EEPKiS8_PKS5_S6_S8_S8_SA_S8_PiPS5_21rocsparse_index_base_SD_SD_b,@function
_ZN9rocsparseL39bsrgeam_wf_per_row_multipass_2_3_kernelILj256ELj3ELj64E21rocsparse_complex_numIdEEEv20rocsparse_direction_iiiNS_24const_host_device_scalarIT2_EEPKiS8_PKS5_S6_S8_S8_SA_S8_PiPS5_21rocsparse_index_base_SD_SD_b: ; @_ZN9rocsparseL39bsrgeam_wf_per_row_multipass_2_3_kernelILj256ELj3ELj64E21rocsparse_complex_numIdEEEv20rocsparse_direction_iiiNS_24const_host_device_scalarIT2_EEPKiS8_PKS5_S6_S8_S8_SA_S8_PiPS5_21rocsparse_index_base_SD_SD_b
; %bb.0:
	s_clause 0x1
	s_load_b128 s[4:7], s[0:1], 0x78
	s_load_b128 s[8:11], s[0:1], 0x10
	v_mbcnt_lo_u32_b32 v10, -1, 0
	s_delay_alu instid0(VALU_DEP_1) | instskip(NEXT) | instid1(VALU_DEP_1)
	v_dual_mov_b32 v2, 0 :: v_dual_lshlrev_b32 v3, 20, v10
	v_add_nc_u64_e32 v[2:3], src_flat_scratch_base_lo, v[2:3]
	s_wait_kmcnt 0x0
	s_bitcmp1_b32 s7, 0
	v_mov_b64_e32 v[4:5], s[8:9]
	s_cselect_b32 s2, -1, 0
	v_mov_b64_e32 v[16:17], s[10:11]
	s_delay_alu instid0(VALU_DEP_3)
	v_cndmask_b32_e64 v3, s9, v3, s2
	v_cndmask_b32_e64 v2, s8, v2, s2
	s_and_b32 vcc_lo, exec_lo, s2
	scratch_store_b64 off, v[4:5], off
	flat_load_b64 v[14:15], v[2:3]
	s_cbranch_vccnz .LBB27_2
; %bb.1:
	v_mov_b32_e32 v1, 0
	flat_load_b64 v[16:17], v1, s[8:9] offset:8
.LBB27_2:
	s_load_b96 s[24:26], s[0:1], 0x0
	s_bfe_u32 s3, ttmp6, 0x4000c
	s_and_b32 s7, ttmp6, 15
	s_add_co_i32 s3, s3, 1
	s_getreg_b32 s8, hwreg(HW_REG_IB_STS2, 6, 4)
	s_mul_i32 s3, ttmp9, s3
	v_lshrrev_b32_e32 v1, 6, v0
	s_add_co_i32 s7, s7, s3
	s_cmp_eq_u32 s8, 0
	s_cselect_b32 s3, ttmp9, s7
	s_delay_alu instid0(SALU_CYCLE_1) | instskip(NEXT) | instid1(SALU_CYCLE_1)
	s_lshl_b32 s3, s3, 2
	v_and_or_b32 v12, 0x3fffffc, s3, v1
	s_mov_b32 s3, exec_lo
	s_wait_kmcnt 0x0
	s_delay_alu instid0(VALU_DEP_1)
	v_cmpx_gt_i32_e64 s25, v12
	s_cbranch_execz .LBB27_37
; %bb.3:
	s_clause 0x3
	s_load_b128 s[8:11], s[0:1], 0x20
	s_load_b64 s[16:17], s[0:1], 0x38
	s_load_b128 s[12:15], s[0:1], 0x48
	s_load_b64 s[18:19], s[0:1], 0x60
	v_dual_mov_b32 v18, 0 :: v_dual_lshlrev_b32 v13, 2, v12
	s_add_nc_u64 s[20:21], s[0:1], 56
	s_and_b32 s2, exec_lo, s2
	s_wait_kmcnt 0x0
	global_load_b64 v[6:7], v13, s[8:9]
	s_cselect_b32 s3, s21, s17
	s_cselect_b32 s2, s20, s16
	global_load_b64 v[8:9], v13, s[12:13]
	global_load_b32 v11, v12, s[18:19] scale_offset
	flat_load_b128 v[2:5], v18, s[2:3]
	s_wait_loadcnt 0x3
	s_wait_xcnt 0x1
	v_subrev_nc_u32_e32 v12, s4, v6
	v_cmp_lt_i32_e32 vcc_lo, v6, v7
	v_mov_b32_e32 v6, s26
	s_wait_xcnt 0x0
	s_and_saveexec_b32 s2, vcc_lo
	s_cbranch_execz .LBB27_5
; %bb.4:
	global_load_b32 v6, v12, s[10:11] scale_offset
	s_wait_loadcnt 0x0
	v_subrev_nc_u32_e32 v6, s4, v6
.LBB27_5:
	s_wait_xcnt 0x0
	s_or_b32 exec_lo, exec_lo, s2
	s_clause 0x2
	s_load_b128 s[16:19], s[0:1], 0x68
	s_load_b64 s[2:3], s[0:1], 0x58
	s_load_b64 s[8:9], s[0:1], 0x30
	s_wait_loadcnt 0x2
	v_subrev_nc_u32_e32 v13, s5, v8
	v_cmp_lt_i32_e32 vcc_lo, v8, v9
	v_mov_b32_e32 v8, s26
	s_wait_xcnt 0x0
	s_and_saveexec_b32 s0, vcc_lo
	s_cbranch_execz .LBB27_7
; %bb.6:
	global_load_b32 v8, v13, s[14:15] scale_offset
	s_wait_loadcnt 0x0
	v_subrev_nc_u32_e32 v8, s5, v8
.LBB27_7:
	s_wait_xcnt 0x0
	s_or_b32 exec_lo, exec_lo, s0
	s_delay_alu instid0(VALU_DEP_1)
	v_min_i32_e32 v32, v8, v6
	v_or_b32_e32 v6, 32, v10
	v_subrev_nc_u32_e32 v20, s4, v7
	s_wait_loadcnt 0x1
	v_subrev_nc_u32_e32 v22, s6, v11
	v_xor_b32_e32 v29, 8, v10
	v_xor_b32_e32 v11, 16, v10
	v_cmp_gt_i32_e32 vcc_lo, 32, v6
	v_and_b32_e32 v41, 63, v0
	v_subrev_nc_u32_e32 v21, s5, v9
	s_cmp_lg_u32 s24, 0
	s_movk_i32 s0, 0xc0
	v_cndmask_b32_e32 v6, v10, v6, vcc_lo
	v_mul_u32_u24_e32 v7, 0x90, v41
	v_cmp_gt_i32_e32 vcc_lo, 32, v11
	v_add_nc_u32_e32 v23, v12, v41
	s_cselect_b32 s1, -1, 0
	s_cmp_eq_u32 s24, 0
	v_mad_u32_u24 v25, 0x2400, v1, v7
	v_dual_add_nc_u32 v24, v13, v41 :: v_dual_lshlrev_b32 v26, 2, v6
	v_cndmask_b32_e32 v11, v10, v11, vcc_lo
	v_cmp_gt_i32_e32 vcc_lo, 32, v29
	s_delay_alu instid0(VALU_DEP_4)
	v_add_nc_u32_e32 v12, 0x60, v25
	v_dual_add_nc_u32 v6, 16, v25 :: v_dual_bitop2_b32 v31, 2, v10 bitop3:0x14
	v_add_nc_u32_e32 v7, 32, v25
	v_dual_cndmask_b32 v33, v10, v29, vcc_lo :: v_dual_bitop2_b32 v29, 1, v10 bitop3:0x14
	v_dual_add_nc_u32 v8, 48, v25 :: v_dual_bitop2_b32 v30, 4, v10 bitop3:0x14
	v_add_nc_u32_e32 v27, 64, v25
	v_and_or_b32 v18, v0, s0, 0x9000
	s_mov_b32 s20, 0
	s_delay_alu instid0(VALU_DEP_3)
	v_cmp_gt_i32_e32 vcc_lo, 32, v30
	v_add_nc_u32_e32 v9, 0x50, v25
	v_bitop3_b32 v0, v0, 63, v0 bitop3:0xc
	s_mov_b32 s21, s20
	s_mov_b32 s22, s20
	v_cndmask_b32_e32 v34, v10, v30, vcc_lo
	v_cmp_gt_i32_e32 vcc_lo, 32, v31
	v_add_nc_u32_e32 v28, 0x80, v25
	v_lshlrev_b32_e32 v30, 2, v33
	s_mov_b32 s23, s20
	v_mul_u32_u24_e32 v19, 0x2400, v1
	v_cndmask_b32_e32 v35, v10, v31, vcc_lo
	v_lshrrev_b64 v[0:1], v0, -1
	v_dual_add_nc_u32 v1, s6, v41 :: v_dual_add_nc_u32 v41, v18, v41
	s_delay_alu instid0(VALU_DEP_3)
	v_dual_mov_b32 v43, 1 :: v_dual_lshlrev_b32 v33, 2, v35
	v_cmp_gt_i32_e32 vcc_lo, 32, v29
	v_dual_mov_b32 v42, 0 :: v_dual_cndmask_b32 v10, v10, v29, vcc_lo
	s_cselect_b32 vcc_lo, -1, 0
	v_dual_cndmask_b32 v36, v12, v7 :: v_dual_add_nc_u32 v13, 0x70, v25
	v_dual_lshlrev_b32 v31, 2, v34 :: v_dual_cndmask_b32 v37, v6, v8, vcc_lo
	s_delay_alu instid0(VALU_DEP_2)
	v_dual_lshlrev_b32 v34, 2, v10 :: v_dual_cndmask_b32 v38, v13, v9, vcc_lo
	v_dual_cndmask_b32 v35, v8, v6, vcc_lo :: v_dual_cndmask_b32 v39, v7, v12, vcc_lo
	v_cndmask_b32_e32 v40, v9, v13, vcc_lo
	v_mov_b64_e32 v[6:7], s[20:21]
	v_mov_b64_e32 v[8:9], s[22:23]
	v_lshlrev_b32_e32 v29, 2, v11
	s_branch .LBB27_9
.LBB27_8:                               ;   in Loop: Header=BB27_9 Depth=1
	s_wait_xcnt 0x0
	s_or_b32 exec_lo, exec_lo, s6
	ds_bpermute_b32 v10, v26, v44
	s_bcnt1_i32_b32 s6, vcc_lo
	s_wait_dscnt 0x0
	v_dual_add_nc_u32 v22, s6, v22 :: v_dual_min_i32 v10, v10, v44
	ds_bpermute_b32 v11, v29, v10
	s_wait_dscnt 0x0
	v_min_i32_e32 v10, v11, v10
	ds_bpermute_b32 v11, v30, v10
	s_wait_dscnt 0x0
	v_min_i32_e32 v10, v11, v10
	;; [unrolled: 3-line block ×5, first 2 shown]
	s_delay_alu instid0(VALU_DEP_1) | instskip(SKIP_1) | instid1(SALU_CYCLE_1)
	v_cmp_le_i32_e64 s0, s26, v32
	s_or_b32 s20, s0, s20
	s_and_not1_b32 exec_lo, exec_lo, s20
	s_cbranch_execz .LBB27_37
.LBB27_9:                               ; =>This Loop Header: Depth=1
                                        ;     Child Loop BB27_12 Depth 2
                                        ;     Child Loop BB27_25 Depth 2
	v_mov_b32_e32 v44, s26
	s_mov_b32 s6, exec_lo
	ds_store_b128 v25, v[6:9]
	ds_store_b128 v25, v[6:9] offset:16
	ds_store_b128 v25, v[6:9] offset:32
	;; [unrolled: 1-line block ×7, first 2 shown]
	ds_store_b8 v41, v42
	ds_store_b128 v25, v[6:9] offset:128
	s_wait_storecnt 0x0
	s_wait_loadcnt_dscnt 0x0
	v_cmpx_lt_i32_e64 v23, v20
	s_cbranch_execz .LBB27_22
; %bb.10:                               ;   in Loop: Header=BB27_9 Depth=1
	v_mad_u32 v10, v23, 9, 8
	v_mov_b32_e32 v44, s26
	s_mov_b32 s7, 0
	s_branch .LBB27_12
.LBB27_11:                              ;   in Loop: Header=BB27_12 Depth=2
	s_or_b32 exec_lo, exec_lo, s13
	s_delay_alu instid0(SALU_CYCLE_1) | instskip(NEXT) | instid1(SALU_CYCLE_1)
	s_and_b32 s0, exec_lo, s12
	s_or_b32 s7, s0, s7
	s_delay_alu instid0(SALU_CYCLE_1)
	s_and_not1_b32 exec_lo, exec_lo, s7
	s_cbranch_execz .LBB27_21
.LBB27_12:                              ;   Parent Loop BB27_9 Depth=1
                                        ; =>  This Inner Loop Header: Depth=2
	global_load_b32 v11, v23, s[10:11] scale_offset
	s_mov_b32 s12, exec_lo
	s_wait_loadcnt 0x0
	v_subrev_nc_u32_e32 v12, s4, v11
	s_delay_alu instid0(VALU_DEP_1) | instskip(NEXT) | instid1(VALU_DEP_1)
	v_sub_nc_u32_e32 v11, v12, v32
	v_cmp_gt_u32_e64 s0, 64, v11
	s_wait_xcnt 0x0
	v_cmpx_lt_u32_e32 63, v11
	s_xor_b32 s12, exec_lo, s12
; %bb.13:                               ;   in Loop: Header=BB27_12 Depth=2
	v_min_i32_e32 v44, v12, v44
                                        ; implicit-def: $vgpr11
; %bb.14:                               ;   in Loop: Header=BB27_12 Depth=2
	s_and_not1_saveexec_b32 s12, s12
	s_cbranch_execz .LBB27_19
; %bb.15:                               ;   in Loop: Header=BB27_12 Depth=2
	v_dual_add_nc_u32 v12, -8, v10 :: v_dual_add_nc_u32 v45, -4, v10
	s_mov_b32 s13, -1
	s_and_not1_b32 vcc_lo, exec_lo, s1
	v_add_nc_u32_e32 v13, -5, v10
	s_wait_kmcnt 0x0
	global_load_b128 v[46:49], v12, s[8:9] scale_offset
	s_wait_xcnt 0x0
	v_mul_lo_u32 v12, 0x90, v11
	s_delay_alu instid0(VALU_DEP_1) | instskip(SKIP_4) | instid1(VALU_DEP_3)
	v_dual_add_nc_u32 v54, v18, v11 :: v_dual_add_nc_u32 v11, v19, v12
	s_wait_loadcnt 0x0
	v_dual_mul_f64 v[50:51], v[48:49], -v[16:17] :: v_dual_add_nc_u32 v12, -2, v10
	v_dual_mul_f64 v[52:53], v[14:15], v[48:49] :: v_dual_add_nc_u32 v49, -1, v10
	v_add_nc_u32_e32 v48, -6, v10
	v_fmac_f64_e32 v[50:51], v[14:15], v[46:47]
	s_delay_alu instid0(VALU_DEP_3)
	v_fmac_f64_e32 v[52:53], v[16:17], v[46:47]
	v_dual_add_nc_u32 v47, -7, v10 :: v_dual_add_nc_u32 v46, -3, v10
	ds_store_b8 v54, v43
	ds_store_b128 v11, v[50:53]
	s_cbranch_vccnz .LBB27_17
; %bb.16:                               ;   in Loop: Header=BB27_12 Depth=2
	s_clause 0x7
	global_load_b128 v[50:53], v13, s[8:9] scale_offset
	global_load_b128 v[54:57], v12, s[8:9] scale_offset
	;; [unrolled: 1-line block ×8, first 2 shown]
	s_mov_b32 s13, 0
	s_wait_loadcnt 0x7
	v_mul_f64_e64 v[82:83], v[52:53], -v[16:17]
	v_mul_f64_e32 v[84:85], v[14:15], v[52:53]
	s_wait_loadcnt 0x6
	v_mul_f64_e64 v[86:87], v[56:57], -v[16:17]
	v_mul_f64_e32 v[88:89], v[14:15], v[56:57]
	;; [unrolled: 3-line block ×8, first 2 shown]
	v_fmac_f64_e32 v[82:83], v[14:15], v[50:51]
	v_fmac_f64_e32 v[84:85], v[16:17], v[50:51]
	v_fmac_f64_e32 v[86:87], v[14:15], v[54:55]
	v_fmac_f64_e32 v[88:89], v[16:17], v[54:55]
	v_fmac_f64_e32 v[90:91], v[14:15], v[58:59]
	v_fmac_f64_e32 v[92:93], v[16:17], v[58:59]
	v_fmac_f64_e32 v[94:95], v[14:15], v[62:63]
	v_fmac_f64_e32 v[96:97], v[16:17], v[62:63]
	v_fmac_f64_e32 v[98:99], v[14:15], v[66:67]
	v_fmac_f64_e32 v[100:101], v[16:17], v[66:67]
	v_fmac_f64_e32 v[102:103], v[14:15], v[70:71]
	v_fmac_f64_e32 v[104:105], v[16:17], v[70:71]
	v_fmac_f64_e32 v[106:107], v[14:15], v[74:75]
	v_fmac_f64_e32 v[108:109], v[16:17], v[74:75]
	v_fmac_f64_e32 v[110:111], v[14:15], v[78:79]
	v_fmac_f64_e32 v[112:113], v[16:17], v[78:79]
	ds_store_b128 v11, v[82:85] offset:16
	ds_store_b128 v11, v[86:89] offset:32
	;; [unrolled: 1-line block ×8, first 2 shown]
.LBB27_17:                              ;   in Loop: Header=BB27_12 Depth=2
	s_and_not1_b32 vcc_lo, exec_lo, s13
	s_cbranch_vccnz .LBB27_19
; %bb.18:                               ;   in Loop: Header=BB27_12 Depth=2
	s_clause 0x7
	global_load_b128 v[50:53], v47, s[8:9] scale_offset
	global_load_b128 v[54:57], v48, s[8:9] scale_offset
	;; [unrolled: 1-line block ×8, first 2 shown]
	s_wait_loadcnt 0x7
	s_wait_xcnt 0x3
	v_mul_f64_e64 v[46:47], v[52:53], -v[16:17]
	s_wait_xcnt 0x1
	v_mul_f64_e32 v[48:49], v[14:15], v[52:53]
	s_wait_loadcnt 0x6
	v_mul_f64_e64 v[82:83], v[56:57], -v[16:17]
	v_mul_f64_e32 v[84:85], v[14:15], v[56:57]
	s_wait_loadcnt 0x5
	v_mul_f64_e64 v[86:87], v[60:61], -v[16:17]
	;; [unrolled: 3-line block ×7, first 2 shown]
	v_mul_f64_e32 v[108:109], v[14:15], v[80:81]
	v_fmac_f64_e32 v[46:47], v[14:15], v[50:51]
	v_fmac_f64_e32 v[48:49], v[16:17], v[50:51]
	;; [unrolled: 1-line block ×16, first 2 shown]
	ds_store_b128 v11, v[46:49] offset:16
	ds_store_b128 v11, v[82:85] offset:32
	;; [unrolled: 1-line block ×8, first 2 shown]
.LBB27_19:                              ;   in Loop: Header=BB27_12 Depth=2
	s_or_b32 exec_lo, exec_lo, s12
	s_mov_b32 s12, -1
	s_and_saveexec_b32 s13, s0
	s_cbranch_execz .LBB27_11
; %bb.20:                               ;   in Loop: Header=BB27_12 Depth=2
	v_add_nc_u32_e32 v23, 64, v23
	v_add_nc_u32_e32 v10, 0x240, v10
	s_delay_alu instid0(VALU_DEP_2)
	v_cmp_ge_i32_e32 vcc_lo, v23, v20
	s_or_not1_b32 s12, vcc_lo, exec_lo
	s_branch .LBB27_11
.LBB27_21:                              ;   in Loop: Header=BB27_9 Depth=1
	s_or_b32 exec_lo, exec_lo, s7
.LBB27_22:                              ;   in Loop: Header=BB27_9 Depth=1
	s_delay_alu instid0(SALU_CYCLE_1) | instskip(NEXT) | instid1(SALU_CYCLE_1)
	s_or_b32 exec_lo, exec_lo, s6
	s_mov_b32 s6, exec_lo
	s_wait_dscnt 0x0
	v_cmpx_lt_i32_e64 v24, v21
	s_cbranch_execz .LBB27_35
; %bb.23:                               ;   in Loop: Header=BB27_9 Depth=1
	v_mad_u32 v45, v24, 9, 8
	s_mov_b32 s7, 0
	s_branch .LBB27_25
.LBB27_24:                              ;   in Loop: Header=BB27_25 Depth=2
	s_or_b32 exec_lo, exec_lo, s13
	s_delay_alu instid0(SALU_CYCLE_1) | instskip(NEXT) | instid1(SALU_CYCLE_1)
	s_and_b32 s0, exec_lo, s12
	s_or_b32 s7, s0, s7
	s_delay_alu instid0(SALU_CYCLE_1)
	s_and_not1_b32 exec_lo, exec_lo, s7
	s_cbranch_execz .LBB27_34
.LBB27_25:                              ;   Parent Loop BB27_9 Depth=1
                                        ; =>  This Inner Loop Header: Depth=2
	s_wait_dscnt 0x2
	global_load_b32 v10, v24, s[14:15] scale_offset
	s_mov_b32 s12, exec_lo
	s_wait_loadcnt 0x0
	v_subrev_nc_u32_e32 v10, s5, v10
	s_delay_alu instid0(VALU_DEP_1) | instskip(NEXT) | instid1(VALU_DEP_1)
	v_sub_nc_u32_e32 v47, v10, v32
	v_cmp_gt_u32_e64 s0, 64, v47
	s_wait_xcnt 0x0
	v_cmpx_lt_u32_e32 63, v47
	s_xor_b32 s12, exec_lo, s12
; %bb.26:                               ;   in Loop: Header=BB27_25 Depth=2
	v_min_i32_e32 v44, v10, v44
                                        ; implicit-def: $vgpr47
; %bb.27:                               ;   in Loop: Header=BB27_25 Depth=2
	s_and_not1_saveexec_b32 s12, s12
	s_cbranch_execz .LBB27_32
; %bb.28:                               ;   in Loop: Header=BB27_25 Depth=2
	v_dual_add_nc_u32 v10, -8, v45 :: v_dual_add_nc_u32 v53, -1, v45
	v_add_nc_u32_e32 v52, -6, v45
	s_mov_b32 s13, -1
	s_and_not1_b32 vcc_lo, exec_lo, s1
	s_wait_kmcnt 0x0
	global_load_b128 v[48:51], v10, s[2:3] scale_offset
	s_wait_xcnt 0x0
	v_mul_lo_u32 v10, 0x90, v47
	v_dual_add_nc_u32 v58, v18, v47 :: v_dual_add_nc_u32 v47, -2, v45
	s_delay_alu instid0(VALU_DEP_2)
	v_add_nc_u32_e32 v46, v19, v10
	ds_load_b128 v[54:57], v46
	ds_load_b128 v[10:13], v46 offset:16
	s_wait_loadcnt_dscnt 0x1
	v_fmac_f64_e32 v[54:55], v[2:3], v[48:49]
	v_fmac_f64_e32 v[56:57], v[4:5], v[48:49]
	v_dual_add_nc_u32 v48, -5, v45 :: v_dual_add_nc_u32 v49, -4, v45
	s_delay_alu instid0(VALU_DEP_3) | instskip(NEXT) | instid1(VALU_DEP_3)
	v_fma_f64 v[54:55], -v[4:5], v[50:51], v[54:55]
	v_fmac_f64_e32 v[56:57], v[2:3], v[50:51]
	v_dual_add_nc_u32 v51, -7, v45 :: v_dual_add_nc_u32 v50, -3, v45
	ds_store_b8 v58, v43
	ds_store_b128 v46, v[54:57]
	s_cbranch_vccnz .LBB27_30
; %bb.29:                               ;   in Loop: Header=BB27_25 Depth=2
	s_clause 0x7
	global_load_b128 v[54:57], v48, s[2:3] scale_offset
	global_load_b128 v[58:61], v47, s[2:3] scale_offset
	;; [unrolled: 1-line block ×8, first 2 shown]
	ds_load_b128 v[86:89], v46 offset:32
	ds_load_b128 v[90:93], v46 offset:48
	;; [unrolled: 1-line block ×7, first 2 shown]
	s_mov_b32 s13, 0
	s_wait_loadcnt_dscnt 0x709
	v_fma_f64 v[114:115], v[2:3], v[54:55], v[10:11]
	v_fma_f64 v[116:117], v[4:5], v[54:55], v[12:13]
	s_wait_loadcnt_dscnt 0x606
	v_fmac_f64_e32 v[86:87], v[2:3], v[58:59]
	v_fmac_f64_e32 v[88:89], v[4:5], v[58:59]
	s_wait_loadcnt_dscnt 0x505
	v_fmac_f64_e32 v[90:91], v[2:3], v[62:63]
	v_fmac_f64_e32 v[92:93], v[4:5], v[62:63]
	;; [unrolled: 3-line block ×7, first 2 shown]
	v_fma_f64 v[114:115], -v[4:5], v[56:57], v[114:115]
	v_fmac_f64_e32 v[116:117], v[2:3], v[56:57]
	v_fma_f64 v[86:87], -v[4:5], v[60:61], v[86:87]
	v_fmac_f64_e32 v[88:89], v[2:3], v[60:61]
	;; [unrolled: 2-line block ×8, first 2 shown]
	ds_store_b128 v46, v[114:117] offset:16
	ds_store_b128 v46, v[86:89] offset:32
	;; [unrolled: 1-line block ×8, first 2 shown]
.LBB27_30:                              ;   in Loop: Header=BB27_25 Depth=2
	s_and_not1_b32 vcc_lo, exec_lo, s13
	s_cbranch_vccnz .LBB27_32
; %bb.31:                               ;   in Loop: Header=BB27_25 Depth=2
	s_clause 0x7
	global_load_b128 v[54:57], v51, s[2:3] scale_offset
	global_load_b128 v[58:61], v52, s[2:3] scale_offset
	;; [unrolled: 1-line block ×8, first 2 shown]
	s_wait_xcnt 0x3
	ds_load_b128 v[48:51], v46 offset:32
	ds_load_b128 v[86:89], v46 offset:48
	;; [unrolled: 1-line block ×7, first 2 shown]
	s_wait_loadcnt_dscnt 0x709
	v_fmac_f64_e32 v[10:11], v[2:3], v[54:55]
	v_fmac_f64_e32 v[12:13], v[4:5], v[54:55]
	s_wait_loadcnt_dscnt 0x606
	v_fmac_f64_e32 v[48:49], v[2:3], v[58:59]
	v_fmac_f64_e32 v[50:51], v[4:5], v[58:59]
	;; [unrolled: 3-line block ×8, first 2 shown]
	v_fma_f64 v[10:11], -v[4:5], v[56:57], v[10:11]
	v_fmac_f64_e32 v[12:13], v[2:3], v[56:57]
	v_fma_f64 v[48:49], -v[4:5], v[60:61], v[48:49]
	v_fmac_f64_e32 v[50:51], v[2:3], v[60:61]
	;; [unrolled: 2-line block ×8, first 2 shown]
	ds_store_b128 v46, v[10:13] offset:16
	ds_store_b128 v46, v[48:51] offset:32
	;; [unrolled: 1-line block ×8, first 2 shown]
.LBB27_32:                              ;   in Loop: Header=BB27_25 Depth=2
	s_or_b32 exec_lo, exec_lo, s12
	s_mov_b32 s12, -1
	s_and_saveexec_b32 s13, s0
	s_cbranch_execz .LBB27_24
; %bb.33:                               ;   in Loop: Header=BB27_25 Depth=2
	v_add_nc_u32_e32 v24, 64, v24
	v_add_nc_u32_e32 v45, 0x240, v45
	s_delay_alu instid0(VALU_DEP_2)
	v_cmp_ge_i32_e32 vcc_lo, v24, v21
	s_or_not1_b32 s12, vcc_lo, exec_lo
	s_branch .LBB27_24
.LBB27_34:                              ;   in Loop: Header=BB27_9 Depth=1
	s_or_b32 exec_lo, exec_lo, s7
.LBB27_35:                              ;   in Loop: Header=BB27_9 Depth=1
	s_delay_alu instid0(SALU_CYCLE_1)
	s_or_b32 exec_lo, exec_lo, s6
	s_wait_dscnt 0x0
	ds_load_u8 v10, v41
	s_mov_b32 s6, exec_lo
	s_wait_dscnt 0x0
	v_and_b32_e32 v11, 1, v10
	v_cmp_ne_u16_e32 vcc_lo, 0, v10
	s_delay_alu instid0(VALU_DEP_2)
	v_cmpx_eq_u32_e32 1, v11
	s_cbranch_execz .LBB27_8
; %bb.36:                               ;   in Loop: Header=BB27_9 Depth=1
	v_and_b32_e32 v10, vcc_lo, v0
	s_delay_alu instid0(VALU_DEP_1)
	v_bcnt_u32_b32 v45, v10, 0
	ds_load_2addr_b64 v[10:13], v25 offset1:1
	ds_load_2addr_b64 v[46:49], v35 offset1:1
	;; [unrolled: 1-line block ×9, first 2 shown]
	v_add3_u32 v45, v22, v45, -1
	s_delay_alu instid0(VALU_DEP_1) | instskip(NEXT) | instid1(VALU_DEP_1)
	v_lshl_add_u32 v78, v45, 3, v45
	v_dual_add_nc_u32 v32, v1, v32 :: v_dual_add_nc_u32 v79, 3, v78
	v_add_nc_u32_e32 v80, 4, v78
	s_wait_kmcnt 0x0
	global_store_b32 v45, v32, s[16:17] scale_offset
	s_wait_xcnt 0x0
	v_dual_add_nc_u32 v32, 1, v78 :: v_dual_add_nc_u32 v45, 2, v78
	v_dual_add_nc_u32 v81, 5, v78 :: v_dual_add_nc_u32 v82, 6, v78
	;; [unrolled: 1-line block ×3, first 2 shown]
	s_wait_dscnt 0x8
	global_store_b128 v78, v[10:13], s[18:19] scale_offset
	s_wait_dscnt 0x7
	global_store_b128 v32, v[46:49], s[18:19] scale_offset
	;; [unrolled: 2-line block ×9, first 2 shown]
	s_branch .LBB27_8
.LBB27_37:
	s_endpgm
	.section	.rodata,"a",@progbits
	.p2align	6, 0x0
	.amdhsa_kernel _ZN9rocsparseL39bsrgeam_wf_per_row_multipass_2_3_kernelILj256ELj3ELj64E21rocsparse_complex_numIdEEEv20rocsparse_direction_iiiNS_24const_host_device_scalarIT2_EEPKiS8_PKS5_S6_S8_S8_SA_S8_PiPS5_21rocsparse_index_base_SD_SD_b
		.amdhsa_group_segment_fixed_size 37120
		.amdhsa_private_segment_fixed_size 16
		.amdhsa_kernarg_size 136
		.amdhsa_user_sgpr_count 2
		.amdhsa_user_sgpr_dispatch_ptr 0
		.amdhsa_user_sgpr_queue_ptr 0
		.amdhsa_user_sgpr_kernarg_segment_ptr 1
		.amdhsa_user_sgpr_dispatch_id 0
		.amdhsa_user_sgpr_kernarg_preload_length 0
		.amdhsa_user_sgpr_kernarg_preload_offset 0
		.amdhsa_user_sgpr_private_segment_size 0
		.amdhsa_wavefront_size32 1
		.amdhsa_uses_dynamic_stack 0
		.amdhsa_enable_private_segment 1
		.amdhsa_system_sgpr_workgroup_id_x 1
		.amdhsa_system_sgpr_workgroup_id_y 0
		.amdhsa_system_sgpr_workgroup_id_z 0
		.amdhsa_system_sgpr_workgroup_info 0
		.amdhsa_system_vgpr_workitem_id 0
		.amdhsa_next_free_vgpr 118
		.amdhsa_next_free_sgpr 27
		.amdhsa_named_barrier_count 0
		.amdhsa_reserve_vcc 1
		.amdhsa_float_round_mode_32 0
		.amdhsa_float_round_mode_16_64 0
		.amdhsa_float_denorm_mode_32 3
		.amdhsa_float_denorm_mode_16_64 3
		.amdhsa_fp16_overflow 0
		.amdhsa_memory_ordered 1
		.amdhsa_forward_progress 1
		.amdhsa_inst_pref_size 30
		.amdhsa_round_robin_scheduling 0
		.amdhsa_exception_fp_ieee_invalid_op 0
		.amdhsa_exception_fp_denorm_src 0
		.amdhsa_exception_fp_ieee_div_zero 0
		.amdhsa_exception_fp_ieee_overflow 0
		.amdhsa_exception_fp_ieee_underflow 0
		.amdhsa_exception_fp_ieee_inexact 0
		.amdhsa_exception_int_div_zero 0
	.end_amdhsa_kernel
	.section	.text._ZN9rocsparseL39bsrgeam_wf_per_row_multipass_2_3_kernelILj256ELj3ELj64E21rocsparse_complex_numIdEEEv20rocsparse_direction_iiiNS_24const_host_device_scalarIT2_EEPKiS8_PKS5_S6_S8_S8_SA_S8_PiPS5_21rocsparse_index_base_SD_SD_b,"axG",@progbits,_ZN9rocsparseL39bsrgeam_wf_per_row_multipass_2_3_kernelILj256ELj3ELj64E21rocsparse_complex_numIdEEEv20rocsparse_direction_iiiNS_24const_host_device_scalarIT2_EEPKiS8_PKS5_S6_S8_S8_SA_S8_PiPS5_21rocsparse_index_base_SD_SD_b,comdat
.Lfunc_end27:
	.size	_ZN9rocsparseL39bsrgeam_wf_per_row_multipass_2_3_kernelILj256ELj3ELj64E21rocsparse_complex_numIdEEEv20rocsparse_direction_iiiNS_24const_host_device_scalarIT2_EEPKiS8_PKS5_S6_S8_S8_SA_S8_PiPS5_21rocsparse_index_base_SD_SD_b, .Lfunc_end27-_ZN9rocsparseL39bsrgeam_wf_per_row_multipass_2_3_kernelILj256ELj3ELj64E21rocsparse_complex_numIdEEEv20rocsparse_direction_iiiNS_24const_host_device_scalarIT2_EEPKiS8_PKS5_S6_S8_S8_SA_S8_PiPS5_21rocsparse_index_base_SD_SD_b
                                        ; -- End function
	.set _ZN9rocsparseL39bsrgeam_wf_per_row_multipass_2_3_kernelILj256ELj3ELj64E21rocsparse_complex_numIdEEEv20rocsparse_direction_iiiNS_24const_host_device_scalarIT2_EEPKiS8_PKS5_S6_S8_S8_SA_S8_PiPS5_21rocsparse_index_base_SD_SD_b.num_vgpr, 118
	.set _ZN9rocsparseL39bsrgeam_wf_per_row_multipass_2_3_kernelILj256ELj3ELj64E21rocsparse_complex_numIdEEEv20rocsparse_direction_iiiNS_24const_host_device_scalarIT2_EEPKiS8_PKS5_S6_S8_S8_SA_S8_PiPS5_21rocsparse_index_base_SD_SD_b.num_agpr, 0
	.set _ZN9rocsparseL39bsrgeam_wf_per_row_multipass_2_3_kernelILj256ELj3ELj64E21rocsparse_complex_numIdEEEv20rocsparse_direction_iiiNS_24const_host_device_scalarIT2_EEPKiS8_PKS5_S6_S8_S8_SA_S8_PiPS5_21rocsparse_index_base_SD_SD_b.numbered_sgpr, 27
	.set _ZN9rocsparseL39bsrgeam_wf_per_row_multipass_2_3_kernelILj256ELj3ELj64E21rocsparse_complex_numIdEEEv20rocsparse_direction_iiiNS_24const_host_device_scalarIT2_EEPKiS8_PKS5_S6_S8_S8_SA_S8_PiPS5_21rocsparse_index_base_SD_SD_b.num_named_barrier, 0
	.set _ZN9rocsparseL39bsrgeam_wf_per_row_multipass_2_3_kernelILj256ELj3ELj64E21rocsparse_complex_numIdEEEv20rocsparse_direction_iiiNS_24const_host_device_scalarIT2_EEPKiS8_PKS5_S6_S8_S8_SA_S8_PiPS5_21rocsparse_index_base_SD_SD_b.private_seg_size, 16
	.set _ZN9rocsparseL39bsrgeam_wf_per_row_multipass_2_3_kernelILj256ELj3ELj64E21rocsparse_complex_numIdEEEv20rocsparse_direction_iiiNS_24const_host_device_scalarIT2_EEPKiS8_PKS5_S6_S8_S8_SA_S8_PiPS5_21rocsparse_index_base_SD_SD_b.uses_vcc, 1
	.set _ZN9rocsparseL39bsrgeam_wf_per_row_multipass_2_3_kernelILj256ELj3ELj64E21rocsparse_complex_numIdEEEv20rocsparse_direction_iiiNS_24const_host_device_scalarIT2_EEPKiS8_PKS5_S6_S8_S8_SA_S8_PiPS5_21rocsparse_index_base_SD_SD_b.uses_flat_scratch, 0
	.set _ZN9rocsparseL39bsrgeam_wf_per_row_multipass_2_3_kernelILj256ELj3ELj64E21rocsparse_complex_numIdEEEv20rocsparse_direction_iiiNS_24const_host_device_scalarIT2_EEPKiS8_PKS5_S6_S8_S8_SA_S8_PiPS5_21rocsparse_index_base_SD_SD_b.has_dyn_sized_stack, 0
	.set _ZN9rocsparseL39bsrgeam_wf_per_row_multipass_2_3_kernelILj256ELj3ELj64E21rocsparse_complex_numIdEEEv20rocsparse_direction_iiiNS_24const_host_device_scalarIT2_EEPKiS8_PKS5_S6_S8_S8_SA_S8_PiPS5_21rocsparse_index_base_SD_SD_b.has_recursion, 0
	.set _ZN9rocsparseL39bsrgeam_wf_per_row_multipass_2_3_kernelILj256ELj3ELj64E21rocsparse_complex_numIdEEEv20rocsparse_direction_iiiNS_24const_host_device_scalarIT2_EEPKiS8_PKS5_S6_S8_S8_SA_S8_PiPS5_21rocsparse_index_base_SD_SD_b.has_indirect_call, 0
	.section	.AMDGPU.csdata,"",@progbits
; Kernel info:
; codeLenInByte = 3728
; TotalNumSgprs: 29
; NumVgprs: 118
; ScratchSize: 16
; MemoryBound: 0
; FloatMode: 240
; IeeeMode: 1
; LDSByteSize: 37120 bytes/workgroup (compile time only)
; SGPRBlocks: 0
; VGPRBlocks: 7
; NumSGPRsForWavesPerEU: 29
; NumVGPRsForWavesPerEU: 118
; NamedBarCnt: 0
; Occupancy: 8
; WaveLimiterHint : 1
; COMPUTE_PGM_RSRC2:SCRATCH_EN: 1
; COMPUTE_PGM_RSRC2:USER_SGPR: 2
; COMPUTE_PGM_RSRC2:TRAP_HANDLER: 0
; COMPUTE_PGM_RSRC2:TGID_X_EN: 1
; COMPUTE_PGM_RSRC2:TGID_Y_EN: 0
; COMPUTE_PGM_RSRC2:TGID_Z_EN: 0
; COMPUTE_PGM_RSRC2:TIDIG_COMP_CNT: 0
	.section	.text._ZN9rocsparseL35bsrgeam_wf_per_row_multipass_kernelILj64ELj4E21rocsparse_complex_numIdEEEv20rocsparse_direction_iiiNS_24const_host_device_scalarIT1_EEPKiS8_PKS5_S6_S8_S8_SA_S8_PiPS5_21rocsparse_index_base_SD_SD_b,"axG",@progbits,_ZN9rocsparseL35bsrgeam_wf_per_row_multipass_kernelILj64ELj4E21rocsparse_complex_numIdEEEv20rocsparse_direction_iiiNS_24const_host_device_scalarIT1_EEPKiS8_PKS5_S6_S8_S8_SA_S8_PiPS5_21rocsparse_index_base_SD_SD_b,comdat
	.globl	_ZN9rocsparseL35bsrgeam_wf_per_row_multipass_kernelILj64ELj4E21rocsparse_complex_numIdEEEv20rocsparse_direction_iiiNS_24const_host_device_scalarIT1_EEPKiS8_PKS5_S6_S8_S8_SA_S8_PiPS5_21rocsparse_index_base_SD_SD_b ; -- Begin function _ZN9rocsparseL35bsrgeam_wf_per_row_multipass_kernelILj64ELj4E21rocsparse_complex_numIdEEEv20rocsparse_direction_iiiNS_24const_host_device_scalarIT1_EEPKiS8_PKS5_S6_S8_S8_SA_S8_PiPS5_21rocsparse_index_base_SD_SD_b
	.p2align	8
	.type	_ZN9rocsparseL35bsrgeam_wf_per_row_multipass_kernelILj64ELj4E21rocsparse_complex_numIdEEEv20rocsparse_direction_iiiNS_24const_host_device_scalarIT1_EEPKiS8_PKS5_S6_S8_S8_SA_S8_PiPS5_21rocsparse_index_base_SD_SD_b,@function
_ZN9rocsparseL35bsrgeam_wf_per_row_multipass_kernelILj64ELj4E21rocsparse_complex_numIdEEEv20rocsparse_direction_iiiNS_24const_host_device_scalarIT1_EEPKiS8_PKS5_S6_S8_S8_SA_S8_PiPS5_21rocsparse_index_base_SD_SD_b: ; @_ZN9rocsparseL35bsrgeam_wf_per_row_multipass_kernelILj64ELj4E21rocsparse_complex_numIdEEEv20rocsparse_direction_iiiNS_24const_host_device_scalarIT1_EEPKiS8_PKS5_S6_S8_S8_SA_S8_PiPS5_21rocsparse_index_base_SD_SD_b
; %bb.0:
	s_clause 0x1
	s_load_b128 s[4:7], s[0:1], 0x78
	s_load_b128 s[8:11], s[0:1], 0x10
	v_mbcnt_lo_u32_b32 v1, -1, 0
	s_load_b64 s[12:13], s[0:1], 0x20
	s_delay_alu instid0(VALU_DEP_1) | instskip(NEXT) | instid1(VALU_DEP_1)
	v_dual_mov_b32 v2, 0 :: v_dual_lshlrev_b32 v3, 20, v1
	v_add_nc_u64_e32 v[2:3], src_flat_scratch_base_lo, v[2:3]
	s_wait_kmcnt 0x0
	s_bitcmp1_b32 s7, 0
	v_mov_b64_e32 v[4:5], s[8:9]
	s_cselect_b32 s2, -1, 0
	v_mov_b64_e32 v[12:13], s[10:11]
	s_delay_alu instid0(VALU_DEP_3)
	v_cndmask_b32_e64 v3, s9, v3, s2
	v_cndmask_b32_e64 v2, s8, v2, s2
	s_and_b32 vcc_lo, exec_lo, s2
	scratch_store_b64 off, v[4:5], off
	flat_load_b64 v[10:11], v[2:3]
	s_cbranch_vccnz .LBB28_2
; %bb.1:
	v_mov_b32_e32 v1, 0
	flat_load_b64 v[12:13], v1, s[8:9] offset:8
.LBB28_2:
	s_wait_xcnt 0x0
	s_load_b64 s[8:9], s[0:1], 0x38
	v_dual_mov_b32 v18, 0 :: v_dual_lshrrev_b32 v1, 4, v0
	s_add_nc_u64 s[10:11], s[0:1], 56
	s_and_b32 s2, exec_lo, s2
	s_getreg_b32 s7, hwreg(HW_REG_IB_STS2, 6, 4)
	v_mov_b32_e32 v14, 0
	s_wait_kmcnt 0x0
	s_cselect_b32 s3, s11, s9
	s_cselect_b32 s2, s10, s8
	s_load_b128 s[8:11], s[0:1], 0x0
	flat_load_b128 v[2:5], v18, s[2:3]
	s_wait_xcnt 0x0
	s_bfe_u32 s2, ttmp6, 0x4000c
	s_and_b32 s3, ttmp6, 15
	s_add_co_i32 s2, s2, 1
	s_delay_alu instid0(SALU_CYCLE_1) | instskip(NEXT) | instid1(SALU_CYCLE_1)
	s_mul_i32 s2, ttmp9, s2
	s_add_co_i32 s3, s3, s2
	s_cmp_eq_u32 s7, 0
	s_cselect_b32 s2, ttmp9, s3
	s_delay_alu instid0(SALU_CYCLE_1) | instskip(SKIP_1) | instid1(VALU_DEP_1)
	v_lshl_or_b32 v6, s2, 2, v1
	s_wait_kmcnt 0x0
	v_cmp_gt_i32_e64 s2, s9, v6
	v_cmp_le_i32_e32 vcc_lo, s9, v6
	s_and_saveexec_b32 s3, s2
	s_cbranch_execz .LBB28_4
; %bb.3:
	global_load_b32 v7, v6, s[12:13] scale_offset
	s_wait_loadcnt 0x0
	v_subrev_nc_u32_e32 v14, s4, v7
.LBB28_4:
	s_wait_xcnt 0x0
	s_or_b32 exec_lo, exec_lo, s3
	s_load_b64 s[14:15], s[0:1], 0x48
	s_and_saveexec_b32 s3, s2
	s_cbranch_execz .LBB28_6
; %bb.5:
	global_load_b32 v7, v6, s[12:13] offset:4 scale_offset
	s_wait_loadcnt 0x0
	v_subrev_nc_u32_e32 v18, s4, v7
.LBB28_6:
	s_wait_xcnt 0x0
	s_or_b32 exec_lo, exec_lo, s3
	v_dual_mov_b32 v19, 0 :: v_dual_mov_b32 v16, 0
	s_and_saveexec_b32 s3, s2
	s_cbranch_execz .LBB28_54
; %bb.7:
	s_wait_kmcnt 0x0
	global_load_b32 v7, v6, s[14:15] scale_offset
	s_wait_loadcnt 0x0
	v_subrev_nc_u32_e32 v16, s5, v7
	s_wait_xcnt 0x0
	s_or_b32 exec_lo, exec_lo, s3
	s_and_saveexec_b32 s3, s2
	s_cbranch_execnz .LBB28_55
.LBB28_8:
	s_or_b32 exec_lo, exec_lo, s3
	v_mov_b32_e32 v20, 0
	s_and_saveexec_b32 s3, s2
	s_cbranch_execz .LBB28_10
.LBB28_9:
	s_load_b64 s[12:13], s[0:1], 0x60
	s_wait_kmcnt 0x0
	global_load_b32 v6, v6, s[12:13] scale_offset
	s_wait_loadcnt 0x0
	v_subrev_nc_u32_e32 v20, s6, v6
.LBB28_10:
	s_wait_xcnt 0x0
	s_or_b32 exec_lo, exec_lo, s3
	s_load_b64 s[16:17], s[0:1], 0x28
	v_mov_b32_e32 v7, s10
	s_mov_b32 s3, exec_lo
	v_cmpx_lt_i32_e64 v14, v18
	s_cbranch_execz .LBB28_12
; %bb.11:
	s_wait_kmcnt 0x0
	global_load_b32 v6, v14, s[16:17] scale_offset
	s_wait_loadcnt 0x0
	v_subrev_nc_u32_e32 v7, s4, v6
.LBB28_12:
	s_wait_xcnt 0x0
	s_or_b32 exec_lo, exec_lo, s3
	s_load_b64 s[18:19], s[0:1], 0x50
	v_mov_b32_e32 v8, s10
	s_mov_b32 s3, exec_lo
	v_cmpx_lt_i32_e64 v16, v19
	s_cbranch_execz .LBB28_14
; %bb.13:
	s_wait_kmcnt 0x0
	global_load_b32 v6, v16, s[18:19] scale_offset
	s_wait_loadcnt 0x0
	v_subrev_nc_u32_e32 v8, s5, v6
.LBB28_14:
	s_wait_xcnt 0x0
	s_or_b32 exec_lo, exec_lo, s3
	v_cndmask_b32_e64 v15, 0, 1, vcc_lo
	v_dual_mov_b32 v6, 0 :: v_dual_lshlrev_b32 v9, 2, v1
	ds_store_b32 v9, v15 offset:1024
	s_wait_storecnt 0x0
	s_wait_loadcnt_dscnt 0x0
	s_barrier_signal -1
	s_barrier_wait -1
	ds_load_b32 v15, v6 offset:1024
	s_wait_dscnt 0x0
	v_cmp_lt_u32_e32 vcc_lo, 3, v15
	s_cbranch_vccnz .LBB28_56
; %bb.15:
	s_wait_kmcnt 0x0
	s_clause 0x2
	s_load_b128 s[12:15], s[0:1], 0x68
	s_load_b64 s[20:21], s[0:1], 0x58
	s_load_b64 s[22:23], s[0:1], 0x30
	v_dual_lshlrev_b32 v25, 4, v0 :: v_dual_bitop2_b32 v22, 3, v0 bitop3:0x40
	v_bfe_u32 v23, v0, 2, 2
	v_min_i32_e32 v33, v8, v7
	v_and_b32_e32 v7, 48, v0
	v_or_b32_e32 v21, 0x400, v9
	v_lshl_or_b32 v24, v1, 2, 0x410
	v_dual_lshlrev_b32 v9, 4, v22 :: v_dual_max_i32 v1, v23, v22
	v_lshlrev_b32_e32 v8, 6, v23
	v_dual_lshlrev_b32 v7, 4, v7 :: v_dual_lshlrev_b32 v15, 6, v22
	v_lshlrev_b32_e32 v17, 4, v23
	s_cmp_lg_u32 s8, 0
	s_wait_xcnt 0x0
	v_cmp_gt_i32_e64 s0, s11, v1
	v_or3_b32 v26, v7, v8, v9
	s_cselect_b32 s7, -1, 0
	v_or3_b32 v27, v7, v15, v17
	s_cmp_eq_u32 s8, 0
	v_cmp_gt_u32_e64 s1, 2, v0
	s_cselect_b32 vcc_lo, -1, 0
	v_lshl_or_b32 v28, v0, 2, 0x400
	v_cmp_eq_u32_e64 s2, 0, v0
	v_dual_cndmask_b32 v29, v23, v22 :: v_dual_cndmask_b32 v30, v22, v23
	v_dual_cndmask_b32 v31, v26, v27 :: v_dual_mov_b32 v32, 1
	v_dual_mov_b32 v7, v6 :: v_dual_mov_b32 v8, v6
	v_mov_b32_e32 v9, v6
	s_mul_i32 s8, s11, s11
	s_branch .LBB28_17
.LBB28_16:                              ;   in Loop: Header=BB28_17 Depth=1
	s_or_b32 exec_lo, exec_lo, s3
	s_wait_dscnt 0x0
	s_barrier_signal -1
	s_barrier_wait -1
	ds_load_b32 v0, v6 offset:1024
	v_dual_mov_b32 v33, v15 :: v_dual_add_nc_u32 v20, 1, v20
	s_wait_dscnt 0x0
	v_cmp_gt_u32_e32 vcc_lo, 4, v0
	s_cbranch_vccz .LBB28_56
.LBB28_17:                              ; =>This Loop Header: Depth=1
                                        ;     Child Loop BB28_20 Depth 2
                                        ;     Child Loop BB28_35 Depth 2
	v_mov_b32_e32 v15, s10
	s_mov_b32 s9, exec_lo
	ds_store_b32 v24, v6
	ds_store_b128 v25, v[6:9]
	s_wait_dscnt 0x0
	s_barrier_signal -1
	s_barrier_wait -1
	v_cmpx_lt_i32_e64 v14, v18
	s_cbranch_execz .LBB28_32
; %bb.18:                               ;   in Loop: Header=BB28_17 Depth=1
	v_mul_lo_u32 v0, s11, v14
	v_dual_ashrrev_i32 v15, 31, v14 :: v_dual_mov_b32 v35, 0
	s_mov_b32 s24, 0
	s_delay_alu instid0(VALU_DEP_2) | instskip(NEXT) | instid1(VALU_DEP_1)
	v_dual_add_nc_u32 v1, v22, v0 :: v_dual_add_nc_u32 v0, v23, v0
	v_mad_u32 v17, s11, v1, v23
	s_delay_alu instid0(VALU_DEP_2)
	v_mad_u32 v34, s11, v0, v22
	v_lshl_add_u64 v[0:1], v[14:15], 2, s[16:17]
	v_mov_b32_e32 v15, s10
	s_branch .LBB28_20
.LBB28_19:                              ;   in Loop: Header=BB28_20 Depth=2
	s_or_b32 exec_lo, exec_lo, s26
	v_dual_mov_b32 v37, v14 :: v_dual_mov_b32 v14, v36
	s_and_b32 s3, exec_lo, s25
	s_delay_alu instid0(SALU_CYCLE_1) | instskip(NEXT) | instid1(SALU_CYCLE_1)
	s_or_b32 s24, s3, s24
	s_and_not1_b32 exec_lo, exec_lo, s24
	s_cbranch_execz .LBB28_31
.LBB28_20:                              ;   Parent Loop BB28_17 Depth=1
                                        ; =>  This Inner Loop Header: Depth=2
	global_load_b32 v36, v[0:1], off
	s_wait_loadcnt 0x0
	v_subrev_nc_u32_e32 v36, s4, v36
	s_delay_alu instid0(VALU_DEP_1) | instskip(SKIP_2) | instid1(SALU_CYCLE_1)
	v_cmp_le_i32_e64 s3, v36, v33
	s_wait_xcnt 0x0
	s_and_saveexec_b32 s25, s3
	s_xor_b32 s25, exec_lo, s25
	s_cbranch_execz .LBB28_27
; %bb.21:                               ;   in Loop: Header=BB28_20 Depth=2
	ds_store_b32 v24, v32
	s_and_saveexec_b32 s26, s0
	s_cbranch_execz .LBB28_26
; %bb.22:                               ;   in Loop: Header=BB28_20 Depth=2
	s_and_b32 vcc_lo, exec_lo, s7
	s_mov_b32 s27, -1
	s_cbranch_vccz .LBB28_24
; %bb.23:                               ;   in Loop: Header=BB28_20 Depth=2
	v_add_nc_u32_e32 v36, v34, v35
	s_mov_b32 s27, 0
	s_wait_kmcnt 0x0
	global_load_b128 v[36:39], v36, s[22:23] scale_offset
	s_wait_loadcnt 0x0
	v_mul_f64_e64 v[40:41], v[38:39], -v[12:13]
	v_mul_f64_e32 v[42:43], v[10:11], v[38:39]
	s_delay_alu instid0(VALU_DEP_2) | instskip(NEXT) | instid1(VALU_DEP_2)
	v_fmac_f64_e32 v[40:41], v[10:11], v[36:37]
	v_fmac_f64_e32 v[42:43], v[12:13], v[36:37]
	ds_store_b128 v26, v[40:43]
.LBB28_24:                              ;   in Loop: Header=BB28_20 Depth=2
	s_and_not1_b32 vcc_lo, exec_lo, s27
	s_cbranch_vccnz .LBB28_26
; %bb.25:                               ;   in Loop: Header=BB28_20 Depth=2
	s_wait_xcnt 0x0
	v_add_nc_u32_e32 v36, v17, v35
	s_wait_kmcnt 0x0
	global_load_b128 v[36:39], v36, s[22:23] scale_offset
	s_wait_loadcnt 0x0
	v_mul_f64_e64 v[40:41], v[38:39], -v[12:13]
	v_mul_f64_e32 v[42:43], v[10:11], v[38:39]
	s_delay_alu instid0(VALU_DEP_2) | instskip(NEXT) | instid1(VALU_DEP_2)
	v_fmac_f64_e32 v[40:41], v[10:11], v[36:37]
	v_fmac_f64_e32 v[42:43], v[12:13], v[36:37]
	ds_store_b128 v27, v[40:43]
.LBB28_26:                              ;   in Loop: Header=BB28_20 Depth=2
	s_wait_xcnt 0x0
	s_or_b32 exec_lo, exec_lo, s26
                                        ; implicit-def: $vgpr36
	s_and_not1_saveexec_b32 s25, s25
	s_branch .LBB28_28
.LBB28_27:                              ;   in Loop: Header=BB28_20 Depth=2
	s_and_not1_saveexec_b32 s25, s25
.LBB28_28:                              ;   in Loop: Header=BB28_20 Depth=2
	v_min_i32_e32 v15, v36, v15
; %bb.29:                               ;   in Loop: Header=BB28_20 Depth=2
	s_or_b32 exec_lo, exec_lo, s25
	s_mov_b32 s25, -1
                                        ; implicit-def: $vgpr36
	s_and_saveexec_b32 s26, s3
	s_cbranch_execz .LBB28_19
; %bb.30:                               ;   in Loop: Header=BB28_20 Depth=2
	v_dual_add_nc_u32 v36, 1, v14 :: v_dual_add_nc_u32 v35, s8, v35
	v_add_nc_u64_e32 v[0:1], 4, v[0:1]
	v_mov_b32_e32 v14, v18
	s_delay_alu instid0(VALU_DEP_3)
	v_cmp_ge_i32_e32 vcc_lo, v36, v18
	s_or_not1_b32 s25, vcc_lo, exec_lo
	s_branch .LBB28_19
.LBB28_31:                              ;   in Loop: Header=BB28_17 Depth=1
	s_or_b32 exec_lo, exec_lo, s24
	v_mov_b32_e32 v14, v37
.LBB28_32:                              ;   in Loop: Header=BB28_17 Depth=1
	s_or_b32 exec_lo, exec_lo, s9
	s_delay_alu instid0(SALU_CYCLE_1)
	s_mov_b32 s9, exec_lo
	s_wait_dscnt 0x0
	s_barrier_signal -1
	s_barrier_wait -1
	v_cmpx_lt_i32_e64 v16, v19
	s_cbranch_execz .LBB28_47
; %bb.33:                               ;   in Loop: Header=BB28_17 Depth=1
	v_mul_lo_u32 v0, s11, v16
	v_ashrrev_i32_e32 v17, 31, v16
	s_mov_b32 s24, 0
	s_delay_alu instid0(VALU_DEP_2) | instskip(NEXT) | instid1(VALU_DEP_1)
	v_dual_add_nc_u32 v1, v22, v0 :: v_dual_add_nc_u32 v0, v23, v0
	v_mad_u32 v34, s11, v1, v23
	s_delay_alu instid0(VALU_DEP_2)
	v_mad_u32 v35, s11, v0, v22
	v_lshl_add_u64 v[0:1], v[16:17], 2, s[18:19]
	v_mov_b32_e32 v17, 0
	s_branch .LBB28_35
.LBB28_34:                              ;   in Loop: Header=BB28_35 Depth=2
	s_or_b32 exec_lo, exec_lo, s26
	v_dual_mov_b32 v37, v16 :: v_dual_mov_b32 v16, v36
	s_and_b32 s3, exec_lo, s25
	s_delay_alu instid0(SALU_CYCLE_1) | instskip(NEXT) | instid1(SALU_CYCLE_1)
	s_or_b32 s24, s3, s24
	s_and_not1_b32 exec_lo, exec_lo, s24
	s_cbranch_execz .LBB28_46
.LBB28_35:                              ;   Parent Loop BB28_17 Depth=1
                                        ; =>  This Inner Loop Header: Depth=2
	global_load_b32 v36, v[0:1], off
	s_wait_loadcnt 0x0
	v_subrev_nc_u32_e32 v36, s5, v36
	s_delay_alu instid0(VALU_DEP_1) | instskip(SKIP_2) | instid1(SALU_CYCLE_1)
	v_cmp_le_i32_e64 s3, v36, v33
	s_wait_xcnt 0x0
	s_and_saveexec_b32 s25, s3
	s_xor_b32 s25, exec_lo, s25
	s_cbranch_execz .LBB28_42
; %bb.36:                               ;   in Loop: Header=BB28_35 Depth=2
	ds_store_b32 v24, v32
	s_and_saveexec_b32 s26, s0
	s_cbranch_execz .LBB28_41
; %bb.37:                               ;   in Loop: Header=BB28_35 Depth=2
	s_and_b32 vcc_lo, exec_lo, s7
	s_mov_b32 s27, -1
	s_cbranch_vccz .LBB28_39
; %bb.38:                               ;   in Loop: Header=BB28_35 Depth=2
	v_add_nc_u32_e32 v36, v35, v17
	ds_load_b128 v[40:43], v26
	s_mov_b32 s27, 0
	s_wait_kmcnt 0x0
	global_load_b128 v[36:39], v36, s[20:21] scale_offset
	s_wait_loadcnt_dscnt 0x0
	v_fmac_f64_e32 v[40:41], v[2:3], v[36:37]
	v_fmac_f64_e32 v[42:43], v[4:5], v[36:37]
	s_delay_alu instid0(VALU_DEP_2) | instskip(NEXT) | instid1(VALU_DEP_2)
	v_fma_f64 v[40:41], -v[4:5], v[38:39], v[40:41]
	v_fmac_f64_e32 v[42:43], v[2:3], v[38:39]
	ds_store_b128 v26, v[40:43]
.LBB28_39:                              ;   in Loop: Header=BB28_35 Depth=2
	s_and_not1_b32 vcc_lo, exec_lo, s27
	s_cbranch_vccnz .LBB28_41
; %bb.40:                               ;   in Loop: Header=BB28_35 Depth=2
	s_wait_xcnt 0x0
	v_add_nc_u32_e32 v36, v34, v17
	ds_load_b128 v[40:43], v27
	s_wait_kmcnt 0x0
	global_load_b128 v[36:39], v36, s[20:21] scale_offset
	s_wait_loadcnt_dscnt 0x0
	v_fmac_f64_e32 v[40:41], v[2:3], v[36:37]
	v_fmac_f64_e32 v[42:43], v[4:5], v[36:37]
	s_delay_alu instid0(VALU_DEP_2) | instskip(NEXT) | instid1(VALU_DEP_2)
	v_fma_f64 v[40:41], -v[4:5], v[38:39], v[40:41]
	v_fmac_f64_e32 v[42:43], v[2:3], v[38:39]
	ds_store_b128 v27, v[40:43]
.LBB28_41:                              ;   in Loop: Header=BB28_35 Depth=2
	s_wait_xcnt 0x0
	s_or_b32 exec_lo, exec_lo, s26
                                        ; implicit-def: $vgpr36
	s_and_not1_saveexec_b32 s25, s25
	s_branch .LBB28_43
.LBB28_42:                              ;   in Loop: Header=BB28_35 Depth=2
	s_and_not1_saveexec_b32 s25, s25
.LBB28_43:                              ;   in Loop: Header=BB28_35 Depth=2
	v_min_i32_e32 v15, v36, v15
; %bb.44:                               ;   in Loop: Header=BB28_35 Depth=2
	s_or_b32 exec_lo, exec_lo, s25
	s_mov_b32 s25, -1
                                        ; implicit-def: $vgpr36
	s_and_saveexec_b32 s26, s3
	s_cbranch_execz .LBB28_34
; %bb.45:                               ;   in Loop: Header=BB28_35 Depth=2
	v_dual_add_nc_u32 v36, 1, v16 :: v_dual_add_nc_u32 v17, s8, v17
	v_add_nc_u64_e32 v[0:1], 4, v[0:1]
	v_mov_b32_e32 v16, v19
	s_delay_alu instid0(VALU_DEP_3)
	v_cmp_ge_i32_e32 vcc_lo, v36, v19
	s_or_not1_b32 s25, vcc_lo, exec_lo
	s_branch .LBB28_34
.LBB28_46:                              ;   in Loop: Header=BB28_17 Depth=1
	s_or_b32 exec_lo, exec_lo, s24
	v_mov_b32_e32 v16, v37
.LBB28_47:                              ;   in Loop: Header=BB28_17 Depth=1
	s_or_b32 exec_lo, exec_lo, s9
	s_wait_dscnt 0x0
	s_barrier_signal -1
	s_barrier_wait -1
	ds_load_b32 v0, v24
	s_mov_b32 s3, exec_lo
	s_wait_dscnt 0x0
	v_cmpx_ne_u32_e32 0, v0
	s_cbranch_execz .LBB28_50
; %bb.48:                               ;   in Loop: Header=BB28_17 Depth=1
	v_add_nc_u32_e32 v0, s6, v33
	s_wait_kmcnt 0x0
	global_store_b32 v20, v0, s[12:13] scale_offset
	s_wait_xcnt 0x0
	s_and_b32 exec_lo, exec_lo, s0
	s_cbranch_execz .LBB28_50
; %bb.49:                               ;   in Loop: Header=BB28_17 Depth=1
	v_mad_u32 v0, v20, s11, v29
	ds_load_2addr_b64 v[34:37], v31 offset1:1
	v_mad_u32 v0, v0, s11, v30
	s_wait_dscnt 0x0
	global_store_b128 v0, v[34:37], s[14:15] scale_offset
.LBB28_50:                              ;   in Loop: Header=BB28_17 Depth=1
	s_wait_xcnt 0x0
	s_or_b32 exec_lo, exec_lo, s3
	v_cmp_le_i32_e32 vcc_lo, s10, v15
	s_wait_storecnt 0x0
	s_barrier_signal -1
	s_barrier_wait -1
	v_cndmask_b32_e64 v0, 0, 1, vcc_lo
	s_barrier_signal -1
	s_barrier_wait -1
	ds_store_b32 v21, v0
	s_wait_dscnt 0x0
	s_barrier_signal -1
	s_barrier_wait -1
	s_and_saveexec_b32 s3, s1
	s_cbranch_execz .LBB28_52
; %bb.51:                               ;   in Loop: Header=BB28_17 Depth=1
	ds_load_2addr_b32 v[0:1], v28 offset1:2
	s_wait_dscnt 0x0
	v_add_nc_u32_e32 v0, v1, v0
	ds_store_b32 v28, v0
.LBB28_52:                              ;   in Loop: Header=BB28_17 Depth=1
	s_or_b32 exec_lo, exec_lo, s3
	s_wait_dscnt 0x0
	s_barrier_signal -1
	s_barrier_wait -1
	s_and_saveexec_b32 s3, s2
	s_cbranch_execz .LBB28_16
; %bb.53:                               ;   in Loop: Header=BB28_17 Depth=1
	ds_load_b64 v[0:1], v6 offset:1024
	s_wait_dscnt 0x0
	v_add_nc_u32_e32 v0, v1, v0
	ds_store_b32 v6, v0 offset:1024
	s_branch .LBB28_16
.LBB28_54:
	s_or_b32 exec_lo, exec_lo, s3
	s_and_saveexec_b32 s3, s2
	s_cbranch_execz .LBB28_8
.LBB28_55:
	s_wait_kmcnt 0x0
	global_load_b32 v7, v6, s[14:15] offset:4 scale_offset
	s_wait_loadcnt 0x0
	v_subrev_nc_u32_e32 v19, s5, v7
	s_wait_xcnt 0x0
	s_or_b32 exec_lo, exec_lo, s3
	v_mov_b32_e32 v20, 0
	s_and_saveexec_b32 s3, s2
	s_cbranch_execnz .LBB28_9
	s_branch .LBB28_10
.LBB28_56:
	s_endpgm
	.section	.rodata,"a",@progbits
	.p2align	6, 0x0
	.amdhsa_kernel _ZN9rocsparseL35bsrgeam_wf_per_row_multipass_kernelILj64ELj4E21rocsparse_complex_numIdEEEv20rocsparse_direction_iiiNS_24const_host_device_scalarIT1_EEPKiS8_PKS5_S6_S8_S8_SA_S8_PiPS5_21rocsparse_index_base_SD_SD_b
		.amdhsa_group_segment_fixed_size 1056
		.amdhsa_private_segment_fixed_size 16
		.amdhsa_kernarg_size 136
		.amdhsa_user_sgpr_count 2
		.amdhsa_user_sgpr_dispatch_ptr 0
		.amdhsa_user_sgpr_queue_ptr 0
		.amdhsa_user_sgpr_kernarg_segment_ptr 1
		.amdhsa_user_sgpr_dispatch_id 0
		.amdhsa_user_sgpr_kernarg_preload_length 0
		.amdhsa_user_sgpr_kernarg_preload_offset 0
		.amdhsa_user_sgpr_private_segment_size 0
		.amdhsa_wavefront_size32 1
		.amdhsa_uses_dynamic_stack 0
		.amdhsa_enable_private_segment 1
		.amdhsa_system_sgpr_workgroup_id_x 1
		.amdhsa_system_sgpr_workgroup_id_y 0
		.amdhsa_system_sgpr_workgroup_id_z 0
		.amdhsa_system_sgpr_workgroup_info 0
		.amdhsa_system_vgpr_workitem_id 0
		.amdhsa_next_free_vgpr 44
		.amdhsa_next_free_sgpr 28
		.amdhsa_named_barrier_count 0
		.amdhsa_reserve_vcc 1
		.amdhsa_float_round_mode_32 0
		.amdhsa_float_round_mode_16_64 0
		.amdhsa_float_denorm_mode_32 3
		.amdhsa_float_denorm_mode_16_64 3
		.amdhsa_fp16_overflow 0
		.amdhsa_memory_ordered 1
		.amdhsa_forward_progress 1
		.amdhsa_inst_pref_size 17
		.amdhsa_round_robin_scheduling 0
		.amdhsa_exception_fp_ieee_invalid_op 0
		.amdhsa_exception_fp_denorm_src 0
		.amdhsa_exception_fp_ieee_div_zero 0
		.amdhsa_exception_fp_ieee_overflow 0
		.amdhsa_exception_fp_ieee_underflow 0
		.amdhsa_exception_fp_ieee_inexact 0
		.amdhsa_exception_int_div_zero 0
	.end_amdhsa_kernel
	.section	.text._ZN9rocsparseL35bsrgeam_wf_per_row_multipass_kernelILj64ELj4E21rocsparse_complex_numIdEEEv20rocsparse_direction_iiiNS_24const_host_device_scalarIT1_EEPKiS8_PKS5_S6_S8_S8_SA_S8_PiPS5_21rocsparse_index_base_SD_SD_b,"axG",@progbits,_ZN9rocsparseL35bsrgeam_wf_per_row_multipass_kernelILj64ELj4E21rocsparse_complex_numIdEEEv20rocsparse_direction_iiiNS_24const_host_device_scalarIT1_EEPKiS8_PKS5_S6_S8_S8_SA_S8_PiPS5_21rocsparse_index_base_SD_SD_b,comdat
.Lfunc_end28:
	.size	_ZN9rocsparseL35bsrgeam_wf_per_row_multipass_kernelILj64ELj4E21rocsparse_complex_numIdEEEv20rocsparse_direction_iiiNS_24const_host_device_scalarIT1_EEPKiS8_PKS5_S6_S8_S8_SA_S8_PiPS5_21rocsparse_index_base_SD_SD_b, .Lfunc_end28-_ZN9rocsparseL35bsrgeam_wf_per_row_multipass_kernelILj64ELj4E21rocsparse_complex_numIdEEEv20rocsparse_direction_iiiNS_24const_host_device_scalarIT1_EEPKiS8_PKS5_S6_S8_S8_SA_S8_PiPS5_21rocsparse_index_base_SD_SD_b
                                        ; -- End function
	.set _ZN9rocsparseL35bsrgeam_wf_per_row_multipass_kernelILj64ELj4E21rocsparse_complex_numIdEEEv20rocsparse_direction_iiiNS_24const_host_device_scalarIT1_EEPKiS8_PKS5_S6_S8_S8_SA_S8_PiPS5_21rocsparse_index_base_SD_SD_b.num_vgpr, 44
	.set _ZN9rocsparseL35bsrgeam_wf_per_row_multipass_kernelILj64ELj4E21rocsparse_complex_numIdEEEv20rocsparse_direction_iiiNS_24const_host_device_scalarIT1_EEPKiS8_PKS5_S6_S8_S8_SA_S8_PiPS5_21rocsparse_index_base_SD_SD_b.num_agpr, 0
	.set _ZN9rocsparseL35bsrgeam_wf_per_row_multipass_kernelILj64ELj4E21rocsparse_complex_numIdEEEv20rocsparse_direction_iiiNS_24const_host_device_scalarIT1_EEPKiS8_PKS5_S6_S8_S8_SA_S8_PiPS5_21rocsparse_index_base_SD_SD_b.numbered_sgpr, 28
	.set _ZN9rocsparseL35bsrgeam_wf_per_row_multipass_kernelILj64ELj4E21rocsparse_complex_numIdEEEv20rocsparse_direction_iiiNS_24const_host_device_scalarIT1_EEPKiS8_PKS5_S6_S8_S8_SA_S8_PiPS5_21rocsparse_index_base_SD_SD_b.num_named_barrier, 0
	.set _ZN9rocsparseL35bsrgeam_wf_per_row_multipass_kernelILj64ELj4E21rocsparse_complex_numIdEEEv20rocsparse_direction_iiiNS_24const_host_device_scalarIT1_EEPKiS8_PKS5_S6_S8_S8_SA_S8_PiPS5_21rocsparse_index_base_SD_SD_b.private_seg_size, 16
	.set _ZN9rocsparseL35bsrgeam_wf_per_row_multipass_kernelILj64ELj4E21rocsparse_complex_numIdEEEv20rocsparse_direction_iiiNS_24const_host_device_scalarIT1_EEPKiS8_PKS5_S6_S8_S8_SA_S8_PiPS5_21rocsparse_index_base_SD_SD_b.uses_vcc, 1
	.set _ZN9rocsparseL35bsrgeam_wf_per_row_multipass_kernelILj64ELj4E21rocsparse_complex_numIdEEEv20rocsparse_direction_iiiNS_24const_host_device_scalarIT1_EEPKiS8_PKS5_S6_S8_S8_SA_S8_PiPS5_21rocsparse_index_base_SD_SD_b.uses_flat_scratch, 0
	.set _ZN9rocsparseL35bsrgeam_wf_per_row_multipass_kernelILj64ELj4E21rocsparse_complex_numIdEEEv20rocsparse_direction_iiiNS_24const_host_device_scalarIT1_EEPKiS8_PKS5_S6_S8_S8_SA_S8_PiPS5_21rocsparse_index_base_SD_SD_b.has_dyn_sized_stack, 0
	.set _ZN9rocsparseL35bsrgeam_wf_per_row_multipass_kernelILj64ELj4E21rocsparse_complex_numIdEEEv20rocsparse_direction_iiiNS_24const_host_device_scalarIT1_EEPKiS8_PKS5_S6_S8_S8_SA_S8_PiPS5_21rocsparse_index_base_SD_SD_b.has_recursion, 0
	.set _ZN9rocsparseL35bsrgeam_wf_per_row_multipass_kernelILj64ELj4E21rocsparse_complex_numIdEEEv20rocsparse_direction_iiiNS_24const_host_device_scalarIT1_EEPKiS8_PKS5_S6_S8_S8_SA_S8_PiPS5_21rocsparse_index_base_SD_SD_b.has_indirect_call, 0
	.section	.AMDGPU.csdata,"",@progbits
; Kernel info:
; codeLenInByte = 2116
; TotalNumSgprs: 30
; NumVgprs: 44
; ScratchSize: 16
; MemoryBound: 0
; FloatMode: 240
; IeeeMode: 1
; LDSByteSize: 1056 bytes/workgroup (compile time only)
; SGPRBlocks: 0
; VGPRBlocks: 2
; NumSGPRsForWavesPerEU: 30
; NumVGPRsForWavesPerEU: 44
; NamedBarCnt: 0
; Occupancy: 16
; WaveLimiterHint : 1
; COMPUTE_PGM_RSRC2:SCRATCH_EN: 1
; COMPUTE_PGM_RSRC2:USER_SGPR: 2
; COMPUTE_PGM_RSRC2:TRAP_HANDLER: 0
; COMPUTE_PGM_RSRC2:TGID_X_EN: 1
; COMPUTE_PGM_RSRC2:TGID_Y_EN: 0
; COMPUTE_PGM_RSRC2:TGID_Z_EN: 0
; COMPUTE_PGM_RSRC2:TIDIG_COMP_CNT: 0
	.section	.text._ZN9rocsparseL35bsrgeam_wf_per_row_multipass_kernelILj64ELj8E21rocsparse_complex_numIdEEEv20rocsparse_direction_iiiNS_24const_host_device_scalarIT1_EEPKiS8_PKS5_S6_S8_S8_SA_S8_PiPS5_21rocsparse_index_base_SD_SD_b,"axG",@progbits,_ZN9rocsparseL35bsrgeam_wf_per_row_multipass_kernelILj64ELj8E21rocsparse_complex_numIdEEEv20rocsparse_direction_iiiNS_24const_host_device_scalarIT1_EEPKiS8_PKS5_S6_S8_S8_SA_S8_PiPS5_21rocsparse_index_base_SD_SD_b,comdat
	.globl	_ZN9rocsparseL35bsrgeam_wf_per_row_multipass_kernelILj64ELj8E21rocsparse_complex_numIdEEEv20rocsparse_direction_iiiNS_24const_host_device_scalarIT1_EEPKiS8_PKS5_S6_S8_S8_SA_S8_PiPS5_21rocsparse_index_base_SD_SD_b ; -- Begin function _ZN9rocsparseL35bsrgeam_wf_per_row_multipass_kernelILj64ELj8E21rocsparse_complex_numIdEEEv20rocsparse_direction_iiiNS_24const_host_device_scalarIT1_EEPKiS8_PKS5_S6_S8_S8_SA_S8_PiPS5_21rocsparse_index_base_SD_SD_b
	.p2align	8
	.type	_ZN9rocsparseL35bsrgeam_wf_per_row_multipass_kernelILj64ELj8E21rocsparse_complex_numIdEEEv20rocsparse_direction_iiiNS_24const_host_device_scalarIT1_EEPKiS8_PKS5_S6_S8_S8_SA_S8_PiPS5_21rocsparse_index_base_SD_SD_b,@function
_ZN9rocsparseL35bsrgeam_wf_per_row_multipass_kernelILj64ELj8E21rocsparse_complex_numIdEEEv20rocsparse_direction_iiiNS_24const_host_device_scalarIT1_EEPKiS8_PKS5_S6_S8_S8_SA_S8_PiPS5_21rocsparse_index_base_SD_SD_b: ; @_ZN9rocsparseL35bsrgeam_wf_per_row_multipass_kernelILj64ELj8E21rocsparse_complex_numIdEEEv20rocsparse_direction_iiiNS_24const_host_device_scalarIT1_EEPKiS8_PKS5_S6_S8_S8_SA_S8_PiPS5_21rocsparse_index_base_SD_SD_b
; %bb.0:
	s_clause 0x1
	s_load_b128 s[4:7], s[0:1], 0x78
	s_load_b128 s[8:11], s[0:1], 0x10
	v_mbcnt_lo_u32_b32 v1, -1, 0
	s_load_b64 s[12:13], s[0:1], 0x20
	s_delay_alu instid0(VALU_DEP_1) | instskip(NEXT) | instid1(VALU_DEP_1)
	v_dual_mov_b32 v2, 0 :: v_dual_lshlrev_b32 v3, 20, v1
	v_add_nc_u64_e32 v[2:3], src_flat_scratch_base_lo, v[2:3]
	s_wait_kmcnt 0x0
	s_bitcmp1_b32 s7, 0
	v_mov_b64_e32 v[4:5], s[8:9]
	s_cselect_b32 s2, -1, 0
	v_mov_b64_e32 v[12:13], s[10:11]
	s_delay_alu instid0(VALU_DEP_3)
	v_cndmask_b32_e64 v3, s9, v3, s2
	v_cndmask_b32_e64 v2, s8, v2, s2
	s_and_b32 vcc_lo, exec_lo, s2
	scratch_store_b64 off, v[4:5], off
	flat_load_b64 v[10:11], v[2:3]
	s_cbranch_vccnz .LBB29_2
; %bb.1:
	v_mov_b32_e32 v1, 0
	flat_load_b64 v[12:13], v1, s[8:9] offset:8
.LBB29_2:
	s_wait_xcnt 0x0
	s_load_b64 s[8:9], s[0:1], 0x38
	v_mov_b32_e32 v18, 0
	s_add_nc_u64 s[10:11], s[0:1], 56
	s_and_b32 s2, exec_lo, s2
	s_getreg_b32 s7, hwreg(HW_REG_IB_STS2, 6, 4)
	v_mov_b32_e32 v14, 0
	s_wait_kmcnt 0x0
	s_cselect_b32 s3, s11, s9
	s_cselect_b32 s2, s10, s8
	s_load_b128 s[8:11], s[0:1], 0x0
	flat_load_b128 v[2:5], v18, s[2:3]
	s_wait_xcnt 0x0
	s_bfe_u32 s2, ttmp6, 0x4000c
	s_and_b32 s3, ttmp6, 15
	s_add_co_i32 s2, s2, 1
	s_delay_alu instid0(SALU_CYCLE_1) | instskip(NEXT) | instid1(SALU_CYCLE_1)
	s_mul_i32 s2, ttmp9, s2
	s_add_co_i32 s3, s3, s2
	s_cmp_eq_u32 s7, 0
	s_cselect_b32 s2, ttmp9, s3
	s_delay_alu instid0(SALU_CYCLE_1)
	v_mov_b32_e32 v1, s2
	s_wait_kmcnt 0x0
	s_cmp_ge_i32 s2, s9
	s_cselect_b32 s7, -1, 0
	s_cmp_lt_i32 s2, s9
	s_cselect_b32 s9, -1, 0
	s_delay_alu instid0(SALU_CYCLE_1)
	s_and_saveexec_b32 s2, s9
	s_cbranch_execz .LBB29_4
; %bb.3:
	global_load_b32 v6, v1, s[12:13] scale_offset
	s_wait_loadcnt 0x0
	v_subrev_nc_u32_e32 v14, s4, v6
.LBB29_4:
	s_wait_xcnt 0x0
	s_or_b32 exec_lo, exec_lo, s2
	s_load_b64 s[2:3], s[0:1], 0x48
	s_and_saveexec_b32 s14, s9
	s_cbranch_execz .LBB29_6
; %bb.5:
	global_load_b32 v6, v1, s[12:13] offset:4 scale_offset
	s_wait_loadcnt 0x0
	v_subrev_nc_u32_e32 v18, s4, v6
.LBB29_6:
	s_wait_xcnt 0x0
	s_or_b32 exec_lo, exec_lo, s14
	v_dual_mov_b32 v19, 0 :: v_dual_mov_b32 v16, 0
	s_and_saveexec_b32 s12, s9
	s_cbranch_execz .LBB29_16
; %bb.7:
	s_wait_kmcnt 0x0
	global_load_b32 v6, v1, s[2:3] scale_offset
	s_wait_loadcnt 0x0
	v_subrev_nc_u32_e32 v16, s5, v6
	s_wait_xcnt 0x0
	s_or_b32 exec_lo, exec_lo, s12
	s_and_saveexec_b32 s12, s9
	s_cbranch_execnz .LBB29_17
.LBB29_8:
	s_or_b32 exec_lo, exec_lo, s12
	v_mov_b32_e32 v20, 0
	s_wait_kmcnt 0x0
	s_and_saveexec_b32 s2, s9
	s_cbranch_execz .LBB29_10
.LBB29_9:
	s_load_b64 s[12:13], s[0:1], 0x60
	s_wait_kmcnt 0x0
	global_load_b32 v1, v1, s[12:13] scale_offset
	s_wait_loadcnt 0x0
	v_subrev_nc_u32_e32 v20, s6, v1
.LBB29_10:
	s_wait_xcnt 0x0
	s_or_b32 exec_lo, exec_lo, s2
	s_load_b64 s[2:3], s[0:1], 0x28
	v_mov_b32_e32 v1, s10
	s_mov_b32 s9, exec_lo
	v_cmpx_lt_i32_e64 v14, v18
	s_cbranch_execz .LBB29_12
; %bb.11:
	s_wait_kmcnt 0x0
	global_load_b32 v1, v14, s[2:3] scale_offset
	s_wait_loadcnt 0x0
	v_subrev_nc_u32_e32 v1, s4, v1
.LBB29_12:
	s_wait_xcnt 0x0
	s_or_b32 exec_lo, exec_lo, s9
	s_load_b64 s[16:17], s[0:1], 0x50
	v_mov_b32_e32 v7, s10
	s_mov_b32 s9, exec_lo
	v_cmpx_lt_i32_e64 v16, v19
	s_cbranch_execz .LBB29_14
; %bb.13:
	s_wait_kmcnt 0x0
	global_load_b32 v6, v16, s[16:17] scale_offset
	s_wait_loadcnt 0x0
	v_subrev_nc_u32_e32 v7, s5, v6
.LBB29_14:
	s_wait_xcnt 0x0
	s_or_b32 exec_lo, exec_lo, s9
	v_cndmask_b32_e64 v8, 0, 1, s7
	v_mov_b32_e32 v6, 0
	ds_store_b32 v6, v8 offset:1024
	s_wait_storecnt 0x0
	s_wait_loadcnt_dscnt 0x0
	s_barrier_signal -1
	s_barrier_wait -1
	ds_load_b32 v8, v6 offset:1024
	s_wait_dscnt 0x0
	v_cmp_ne_u32_e32 vcc_lo, 0, v8
	s_cbranch_vccz .LBB29_18
.LBB29_15:
	s_endpgm
.LBB29_16:
	s_or_b32 exec_lo, exec_lo, s12
	s_and_saveexec_b32 s12, s9
	s_cbranch_execz .LBB29_8
.LBB29_17:
	s_wait_kmcnt 0x0
	global_load_b32 v6, v1, s[2:3] offset:4 scale_offset
	s_wait_loadcnt 0x0
	v_subrev_nc_u32_e32 v19, s5, v6
	s_wait_xcnt 0x0
	s_or_b32 exec_lo, exec_lo, s12
	v_mov_b32_e32 v20, 0
	s_and_saveexec_b32 s2, s9
	s_cbranch_execnz .LBB29_9
	s_branch .LBB29_10
.LBB29_18:
	s_clause 0x2
	s_load_b128 s[12:15], s[0:1], 0x68
	s_load_b64 s[18:19], s[0:1], 0x58
	s_load_b64 s[20:21], s[0:1], 0x30
	v_dual_lshrrev_b32 v23, 3, v0 :: v_dual_bitop2_b32 v22, 7, v0 bitop3:0x40
	v_mov_b32_e32 v21, 0x400
	v_dual_mov_b32 v24, 0x404 :: v_dual_min_i32 v15, v7, v1
	s_delay_alu instid0(VALU_DEP_3) | instskip(NEXT) | instid1(VALU_DEP_4)
	v_dual_lshlrev_b32 v25, 4, v0 :: v_dual_lshlrev_b32 v1, 4, v23
	v_lshlrev_b32_e32 v0, 4, v22
	s_cmp_lg_u32 s8, 0
	v_mov_b32_e32 v8, v6
	s_cselect_b32 s7, -1, 0
	s_cmp_eq_u32 s8, 0
	v_lshl_or_b32 v26, v23, 7, v0
	v_lshl_or_b32 v27, v22, 7, v1
	s_cselect_b32 vcc_lo, -1, 0
	v_dual_cndmask_b32 v28, v23, v22 :: v_dual_max_i32 v7, v23, v22
	v_dual_cndmask_b32 v29, v22, v23, vcc_lo :: v_dual_mov_b32 v31, 1
	s_delay_alu instid0(VALU_DEP_3) | instskip(SKIP_1) | instid1(VALU_DEP_3)
	v_cndmask_b32_e32 v30, v26, v27, vcc_lo
	s_wait_xcnt 0x0
	v_cmp_gt_i32_e64 s0, s11, v7
	v_dual_mov_b32 v7, v6 :: v_dual_mov_b32 v9, v6
	s_mul_i32 s8, s11, s11
	s_branch .LBB29_20
.LBB29_19:                              ;   in Loop: Header=BB29_20 Depth=1
	s_wait_xcnt 0x0
	s_or_b32 exec_lo, exec_lo, s1
	v_cmp_le_i32_e32 vcc_lo, s10, v15
	s_wait_storecnt 0x0
	s_barrier_signal -1
	s_barrier_wait -1
	v_cndmask_b32_e64 v0, 0, 1, vcc_lo
	s_barrier_signal -1
	s_barrier_wait -1
	ds_store_b32 v21, v0
	s_wait_dscnt 0x0
	s_barrier_signal -1
	s_barrier_wait -1
	ds_load_b32 v0, v6 offset:1024
	v_add_nc_u32_e32 v20, 1, v20
	s_wait_dscnt 0x0
	v_cmp_eq_u32_e32 vcc_lo, 0, v0
	s_cbranch_vccz .LBB29_15
.LBB29_20:                              ; =>This Loop Header: Depth=1
                                        ;     Child Loop BB29_23 Depth 2
                                        ;     Child Loop BB29_38 Depth 2
	v_dual_mov_b32 v32, v15 :: v_dual_mov_b32 v15, s10
	s_mov_b32 s9, exec_lo
	ds_store_b32 v24, v6
	ds_store_b128 v25, v[6:9]
	s_wait_dscnt 0x0
	s_barrier_signal -1
	s_barrier_wait -1
	v_cmpx_lt_i32_e64 v14, v18
	s_cbranch_execz .LBB29_35
; %bb.21:                               ;   in Loop: Header=BB29_20 Depth=1
	v_mul_lo_u32 v0, s11, v14
	v_dual_mov_b32 v34, 0 :: v_dual_ashrrev_i32 v15, 31, v14
	s_mov_b32 s22, 0
	s_delay_alu instid0(VALU_DEP_2) | instskip(NEXT) | instid1(VALU_DEP_1)
	v_dual_add_nc_u32 v1, v22, v0 :: v_dual_add_nc_u32 v0, v23, v0
	v_mad_u32 v17, s11, v1, v23
	s_delay_alu instid0(VALU_DEP_2)
	v_mad_u32 v33, s11, v0, v22
	s_wait_kmcnt 0x0
	v_lshl_add_u64 v[0:1], v[14:15], 2, s[2:3]
	v_mov_b32_e32 v15, s10
	s_branch .LBB29_23
.LBB29_22:                              ;   in Loop: Header=BB29_23 Depth=2
	s_or_b32 exec_lo, exec_lo, s24
	v_dual_mov_b32 v36, v14 :: v_dual_mov_b32 v14, v35
	s_and_b32 s1, exec_lo, s23
	s_delay_alu instid0(SALU_CYCLE_1) | instskip(NEXT) | instid1(SALU_CYCLE_1)
	s_or_b32 s22, s1, s22
	s_and_not1_b32 exec_lo, exec_lo, s22
	s_cbranch_execz .LBB29_34
.LBB29_23:                              ;   Parent Loop BB29_20 Depth=1
                                        ; =>  This Inner Loop Header: Depth=2
	global_load_b32 v35, v[0:1], off
	s_wait_loadcnt 0x0
	v_subrev_nc_u32_e32 v35, s4, v35
	s_delay_alu instid0(VALU_DEP_1) | instskip(SKIP_2) | instid1(SALU_CYCLE_1)
	v_cmp_le_i32_e64 s1, v35, v32
	s_wait_xcnt 0x0
	s_and_saveexec_b32 s23, s1
	s_xor_b32 s23, exec_lo, s23
	s_cbranch_execz .LBB29_30
; %bb.24:                               ;   in Loop: Header=BB29_23 Depth=2
	ds_store_b32 v24, v31
	s_and_saveexec_b32 s24, s0
	s_cbranch_execz .LBB29_29
; %bb.25:                               ;   in Loop: Header=BB29_23 Depth=2
	s_and_b32 vcc_lo, exec_lo, s7
	s_mov_b32 s25, -1
	s_cbranch_vccz .LBB29_27
; %bb.26:                               ;   in Loop: Header=BB29_23 Depth=2
	v_add_nc_u32_e32 v35, v33, v34
	s_mov_b32 s25, 0
	global_load_b128 v[36:39], v35, s[20:21] scale_offset
	s_wait_loadcnt 0x0
	v_mul_f64_e64 v[40:41], v[38:39], -v[12:13]
	v_mul_f64_e32 v[42:43], v[10:11], v[38:39]
	s_delay_alu instid0(VALU_DEP_2) | instskip(NEXT) | instid1(VALU_DEP_2)
	v_fmac_f64_e32 v[40:41], v[10:11], v[36:37]
	v_fmac_f64_e32 v[42:43], v[12:13], v[36:37]
	ds_store_b128 v26, v[40:43]
.LBB29_27:                              ;   in Loop: Header=BB29_23 Depth=2
	s_and_not1_b32 vcc_lo, exec_lo, s25
	s_cbranch_vccnz .LBB29_29
; %bb.28:                               ;   in Loop: Header=BB29_23 Depth=2
	s_wait_xcnt 0x0
	v_add_nc_u32_e32 v35, v17, v34
	global_load_b128 v[36:39], v35, s[20:21] scale_offset
	s_wait_loadcnt 0x0
	v_mul_f64_e64 v[40:41], v[38:39], -v[12:13]
	v_mul_f64_e32 v[42:43], v[10:11], v[38:39]
	s_delay_alu instid0(VALU_DEP_2) | instskip(NEXT) | instid1(VALU_DEP_2)
	v_fmac_f64_e32 v[40:41], v[10:11], v[36:37]
	v_fmac_f64_e32 v[42:43], v[12:13], v[36:37]
	ds_store_b128 v27, v[40:43]
.LBB29_29:                              ;   in Loop: Header=BB29_23 Depth=2
	s_wait_xcnt 0x0
	s_or_b32 exec_lo, exec_lo, s24
                                        ; implicit-def: $vgpr35
	s_and_not1_saveexec_b32 s23, s23
	s_branch .LBB29_31
.LBB29_30:                              ;   in Loop: Header=BB29_23 Depth=2
	s_and_not1_saveexec_b32 s23, s23
.LBB29_31:                              ;   in Loop: Header=BB29_23 Depth=2
	v_min_i32_e32 v15, v35, v15
; %bb.32:                               ;   in Loop: Header=BB29_23 Depth=2
	s_or_b32 exec_lo, exec_lo, s23
	s_mov_b32 s23, -1
                                        ; implicit-def: $vgpr35
	s_and_saveexec_b32 s24, s1
	s_cbranch_execz .LBB29_22
; %bb.33:                               ;   in Loop: Header=BB29_23 Depth=2
	v_dual_mov_b32 v14, v18 :: v_dual_add_nc_u32 v35, 1, v14
	v_add_nc_u64_e32 v[0:1], 4, v[0:1]
	v_add_nc_u32_e32 v34, s8, v34
	s_delay_alu instid0(VALU_DEP_3)
	v_cmp_ge_i32_e32 vcc_lo, v35, v18
	s_or_not1_b32 s23, vcc_lo, exec_lo
	s_branch .LBB29_22
.LBB29_34:                              ;   in Loop: Header=BB29_20 Depth=1
	s_or_b32 exec_lo, exec_lo, s22
	v_mov_b32_e32 v14, v36
.LBB29_35:                              ;   in Loop: Header=BB29_20 Depth=1
	s_or_b32 exec_lo, exec_lo, s9
	s_delay_alu instid0(SALU_CYCLE_1)
	s_mov_b32 s9, exec_lo
	s_wait_dscnt 0x0
	s_barrier_signal -1
	s_barrier_wait -1
	v_cmpx_lt_i32_e64 v16, v19
	s_cbranch_execz .LBB29_50
; %bb.36:                               ;   in Loop: Header=BB29_20 Depth=1
	v_mul_lo_u32 v0, s11, v16
	v_ashrrev_i32_e32 v17, 31, v16
	s_mov_b32 s22, 0
	s_delay_alu instid0(VALU_DEP_2) | instskip(NEXT) | instid1(VALU_DEP_1)
	v_dual_add_nc_u32 v1, v22, v0 :: v_dual_add_nc_u32 v0, v23, v0
	v_mad_u32 v33, s11, v1, v23
	s_delay_alu instid0(VALU_DEP_2)
	v_mad_u32 v34, s11, v0, v22
	s_wait_kmcnt 0x0
	v_lshl_add_u64 v[0:1], v[16:17], 2, s[16:17]
	v_mov_b32_e32 v17, 0
	s_branch .LBB29_38
.LBB29_37:                              ;   in Loop: Header=BB29_38 Depth=2
	s_or_b32 exec_lo, exec_lo, s24
	v_dual_mov_b32 v36, v16 :: v_dual_mov_b32 v16, v35
	s_and_b32 s1, exec_lo, s23
	s_delay_alu instid0(SALU_CYCLE_1) | instskip(NEXT) | instid1(SALU_CYCLE_1)
	s_or_b32 s22, s1, s22
	s_and_not1_b32 exec_lo, exec_lo, s22
	s_cbranch_execz .LBB29_49
.LBB29_38:                              ;   Parent Loop BB29_20 Depth=1
                                        ; =>  This Inner Loop Header: Depth=2
	global_load_b32 v35, v[0:1], off
	s_wait_loadcnt 0x0
	v_subrev_nc_u32_e32 v35, s5, v35
	s_delay_alu instid0(VALU_DEP_1) | instskip(SKIP_2) | instid1(SALU_CYCLE_1)
	v_cmp_le_i32_e64 s1, v35, v32
	s_wait_xcnt 0x0
	s_and_saveexec_b32 s23, s1
	s_xor_b32 s23, exec_lo, s23
	s_cbranch_execz .LBB29_45
; %bb.39:                               ;   in Loop: Header=BB29_38 Depth=2
	ds_store_b32 v24, v31
	s_and_saveexec_b32 s24, s0
	s_cbranch_execz .LBB29_44
; %bb.40:                               ;   in Loop: Header=BB29_38 Depth=2
	s_and_b32 vcc_lo, exec_lo, s7
	s_mov_b32 s25, -1
	s_cbranch_vccz .LBB29_42
; %bb.41:                               ;   in Loop: Header=BB29_38 Depth=2
	v_add_nc_u32_e32 v35, v34, v17
	ds_load_b128 v[40:43], v26
	s_mov_b32 s25, 0
	global_load_b128 v[36:39], v35, s[18:19] scale_offset
	s_wait_loadcnt_dscnt 0x0
	v_fmac_f64_e32 v[40:41], v[2:3], v[36:37]
	v_fmac_f64_e32 v[42:43], v[4:5], v[36:37]
	s_delay_alu instid0(VALU_DEP_2) | instskip(NEXT) | instid1(VALU_DEP_2)
	v_fma_f64 v[40:41], -v[4:5], v[38:39], v[40:41]
	v_fmac_f64_e32 v[42:43], v[2:3], v[38:39]
	ds_store_b128 v26, v[40:43]
.LBB29_42:                              ;   in Loop: Header=BB29_38 Depth=2
	s_and_not1_b32 vcc_lo, exec_lo, s25
	s_cbranch_vccnz .LBB29_44
; %bb.43:                               ;   in Loop: Header=BB29_38 Depth=2
	s_wait_xcnt 0x0
	v_add_nc_u32_e32 v35, v33, v17
	ds_load_b128 v[40:43], v27
	global_load_b128 v[36:39], v35, s[18:19] scale_offset
	s_wait_loadcnt_dscnt 0x0
	v_fmac_f64_e32 v[40:41], v[2:3], v[36:37]
	v_fmac_f64_e32 v[42:43], v[4:5], v[36:37]
	s_delay_alu instid0(VALU_DEP_2) | instskip(NEXT) | instid1(VALU_DEP_2)
	v_fma_f64 v[40:41], -v[4:5], v[38:39], v[40:41]
	v_fmac_f64_e32 v[42:43], v[2:3], v[38:39]
	ds_store_b128 v27, v[40:43]
.LBB29_44:                              ;   in Loop: Header=BB29_38 Depth=2
	s_wait_xcnt 0x0
	s_or_b32 exec_lo, exec_lo, s24
                                        ; implicit-def: $vgpr35
	s_and_not1_saveexec_b32 s23, s23
	s_branch .LBB29_46
.LBB29_45:                              ;   in Loop: Header=BB29_38 Depth=2
	s_and_not1_saveexec_b32 s23, s23
.LBB29_46:                              ;   in Loop: Header=BB29_38 Depth=2
	v_min_i32_e32 v15, v35, v15
; %bb.47:                               ;   in Loop: Header=BB29_38 Depth=2
	s_or_b32 exec_lo, exec_lo, s23
	s_mov_b32 s23, -1
                                        ; implicit-def: $vgpr35
	s_and_saveexec_b32 s24, s1
	s_cbranch_execz .LBB29_37
; %bb.48:                               ;   in Loop: Header=BB29_38 Depth=2
	v_dual_add_nc_u32 v35, 1, v16 :: v_dual_add_nc_u32 v17, s8, v17
	v_add_nc_u64_e32 v[0:1], 4, v[0:1]
	v_mov_b32_e32 v16, v19
	s_delay_alu instid0(VALU_DEP_3)
	v_cmp_ge_i32_e32 vcc_lo, v35, v19
	s_or_not1_b32 s23, vcc_lo, exec_lo
	s_branch .LBB29_37
.LBB29_49:                              ;   in Loop: Header=BB29_20 Depth=1
	s_or_b32 exec_lo, exec_lo, s22
	v_mov_b32_e32 v16, v36
.LBB29_50:                              ;   in Loop: Header=BB29_20 Depth=1
	s_or_b32 exec_lo, exec_lo, s9
	s_wait_dscnt 0x0
	s_barrier_signal -1
	s_barrier_wait -1
	ds_load_b32 v0, v24
	s_mov_b32 s1, exec_lo
	s_wait_dscnt 0x0
	v_cmpx_ne_u32_e32 0, v0
	s_cbranch_execz .LBB29_19
; %bb.51:                               ;   in Loop: Header=BB29_20 Depth=1
	v_add_nc_u32_e32 v0, s6, v32
	s_wait_kmcnt 0x0
	global_store_b32 v20, v0, s[12:13] scale_offset
	s_wait_xcnt 0x0
	s_and_b32 exec_lo, exec_lo, s0
	s_cbranch_execz .LBB29_19
; %bb.52:                               ;   in Loop: Header=BB29_20 Depth=1
	v_mad_u32 v0, v20, s11, v28
	ds_load_2addr_b64 v[32:35], v30 offset1:1
	v_mad_u32 v0, v0, s11, v29
	s_wait_dscnt 0x0
	global_store_b128 v0, v[32:35], s[14:15] scale_offset
	s_branch .LBB29_19
	.section	.rodata,"a",@progbits
	.p2align	6, 0x0
	.amdhsa_kernel _ZN9rocsparseL35bsrgeam_wf_per_row_multipass_kernelILj64ELj8E21rocsparse_complex_numIdEEEv20rocsparse_direction_iiiNS_24const_host_device_scalarIT1_EEPKiS8_PKS5_S6_S8_S8_SA_S8_PiPS5_21rocsparse_index_base_SD_SD_b
		.amdhsa_group_segment_fixed_size 1032
		.amdhsa_private_segment_fixed_size 16
		.amdhsa_kernarg_size 136
		.amdhsa_user_sgpr_count 2
		.amdhsa_user_sgpr_dispatch_ptr 0
		.amdhsa_user_sgpr_queue_ptr 0
		.amdhsa_user_sgpr_kernarg_segment_ptr 1
		.amdhsa_user_sgpr_dispatch_id 0
		.amdhsa_user_sgpr_kernarg_preload_length 0
		.amdhsa_user_sgpr_kernarg_preload_offset 0
		.amdhsa_user_sgpr_private_segment_size 0
		.amdhsa_wavefront_size32 1
		.amdhsa_uses_dynamic_stack 0
		.amdhsa_enable_private_segment 1
		.amdhsa_system_sgpr_workgroup_id_x 1
		.amdhsa_system_sgpr_workgroup_id_y 0
		.amdhsa_system_sgpr_workgroup_id_z 0
		.amdhsa_system_sgpr_workgroup_info 0
		.amdhsa_system_vgpr_workitem_id 0
		.amdhsa_next_free_vgpr 44
		.amdhsa_next_free_sgpr 26
		.amdhsa_named_barrier_count 0
		.amdhsa_reserve_vcc 1
		.amdhsa_float_round_mode_32 0
		.amdhsa_float_round_mode_16_64 0
		.amdhsa_float_denorm_mode_32 3
		.amdhsa_float_denorm_mode_16_64 3
		.amdhsa_fp16_overflow 0
		.amdhsa_memory_ordered 1
		.amdhsa_forward_progress 1
		.amdhsa_inst_pref_size 16
		.amdhsa_round_robin_scheduling 0
		.amdhsa_exception_fp_ieee_invalid_op 0
		.amdhsa_exception_fp_denorm_src 0
		.amdhsa_exception_fp_ieee_div_zero 0
		.amdhsa_exception_fp_ieee_overflow 0
		.amdhsa_exception_fp_ieee_underflow 0
		.amdhsa_exception_fp_ieee_inexact 0
		.amdhsa_exception_int_div_zero 0
	.end_amdhsa_kernel
	.section	.text._ZN9rocsparseL35bsrgeam_wf_per_row_multipass_kernelILj64ELj8E21rocsparse_complex_numIdEEEv20rocsparse_direction_iiiNS_24const_host_device_scalarIT1_EEPKiS8_PKS5_S6_S8_S8_SA_S8_PiPS5_21rocsparse_index_base_SD_SD_b,"axG",@progbits,_ZN9rocsparseL35bsrgeam_wf_per_row_multipass_kernelILj64ELj8E21rocsparse_complex_numIdEEEv20rocsparse_direction_iiiNS_24const_host_device_scalarIT1_EEPKiS8_PKS5_S6_S8_S8_SA_S8_PiPS5_21rocsparse_index_base_SD_SD_b,comdat
.Lfunc_end29:
	.size	_ZN9rocsparseL35bsrgeam_wf_per_row_multipass_kernelILj64ELj8E21rocsparse_complex_numIdEEEv20rocsparse_direction_iiiNS_24const_host_device_scalarIT1_EEPKiS8_PKS5_S6_S8_S8_SA_S8_PiPS5_21rocsparse_index_base_SD_SD_b, .Lfunc_end29-_ZN9rocsparseL35bsrgeam_wf_per_row_multipass_kernelILj64ELj8E21rocsparse_complex_numIdEEEv20rocsparse_direction_iiiNS_24const_host_device_scalarIT1_EEPKiS8_PKS5_S6_S8_S8_SA_S8_PiPS5_21rocsparse_index_base_SD_SD_b
                                        ; -- End function
	.set _ZN9rocsparseL35bsrgeam_wf_per_row_multipass_kernelILj64ELj8E21rocsparse_complex_numIdEEEv20rocsparse_direction_iiiNS_24const_host_device_scalarIT1_EEPKiS8_PKS5_S6_S8_S8_SA_S8_PiPS5_21rocsparse_index_base_SD_SD_b.num_vgpr, 44
	.set _ZN9rocsparseL35bsrgeam_wf_per_row_multipass_kernelILj64ELj8E21rocsparse_complex_numIdEEEv20rocsparse_direction_iiiNS_24const_host_device_scalarIT1_EEPKiS8_PKS5_S6_S8_S8_SA_S8_PiPS5_21rocsparse_index_base_SD_SD_b.num_agpr, 0
	.set _ZN9rocsparseL35bsrgeam_wf_per_row_multipass_kernelILj64ELj8E21rocsparse_complex_numIdEEEv20rocsparse_direction_iiiNS_24const_host_device_scalarIT1_EEPKiS8_PKS5_S6_S8_S8_SA_S8_PiPS5_21rocsparse_index_base_SD_SD_b.numbered_sgpr, 26
	.set _ZN9rocsparseL35bsrgeam_wf_per_row_multipass_kernelILj64ELj8E21rocsparse_complex_numIdEEEv20rocsparse_direction_iiiNS_24const_host_device_scalarIT1_EEPKiS8_PKS5_S6_S8_S8_SA_S8_PiPS5_21rocsparse_index_base_SD_SD_b.num_named_barrier, 0
	.set _ZN9rocsparseL35bsrgeam_wf_per_row_multipass_kernelILj64ELj8E21rocsparse_complex_numIdEEEv20rocsparse_direction_iiiNS_24const_host_device_scalarIT1_EEPKiS8_PKS5_S6_S8_S8_SA_S8_PiPS5_21rocsparse_index_base_SD_SD_b.private_seg_size, 16
	.set _ZN9rocsparseL35bsrgeam_wf_per_row_multipass_kernelILj64ELj8E21rocsparse_complex_numIdEEEv20rocsparse_direction_iiiNS_24const_host_device_scalarIT1_EEPKiS8_PKS5_S6_S8_S8_SA_S8_PiPS5_21rocsparse_index_base_SD_SD_b.uses_vcc, 1
	.set _ZN9rocsparseL35bsrgeam_wf_per_row_multipass_kernelILj64ELj8E21rocsparse_complex_numIdEEEv20rocsparse_direction_iiiNS_24const_host_device_scalarIT1_EEPKiS8_PKS5_S6_S8_S8_SA_S8_PiPS5_21rocsparse_index_base_SD_SD_b.uses_flat_scratch, 0
	.set _ZN9rocsparseL35bsrgeam_wf_per_row_multipass_kernelILj64ELj8E21rocsparse_complex_numIdEEEv20rocsparse_direction_iiiNS_24const_host_device_scalarIT1_EEPKiS8_PKS5_S6_S8_S8_SA_S8_PiPS5_21rocsparse_index_base_SD_SD_b.has_dyn_sized_stack, 0
	.set _ZN9rocsparseL35bsrgeam_wf_per_row_multipass_kernelILj64ELj8E21rocsparse_complex_numIdEEEv20rocsparse_direction_iiiNS_24const_host_device_scalarIT1_EEPKiS8_PKS5_S6_S8_S8_SA_S8_PiPS5_21rocsparse_index_base_SD_SD_b.has_recursion, 0
	.set _ZN9rocsparseL35bsrgeam_wf_per_row_multipass_kernelILj64ELj8E21rocsparse_complex_numIdEEEv20rocsparse_direction_iiiNS_24const_host_device_scalarIT1_EEPKiS8_PKS5_S6_S8_S8_SA_S8_PiPS5_21rocsparse_index_base_SD_SD_b.has_indirect_call, 0
	.section	.AMDGPU.csdata,"",@progbits
; Kernel info:
; codeLenInByte = 1968
; TotalNumSgprs: 28
; NumVgprs: 44
; ScratchSize: 16
; MemoryBound: 0
; FloatMode: 240
; IeeeMode: 1
; LDSByteSize: 1032 bytes/workgroup (compile time only)
; SGPRBlocks: 0
; VGPRBlocks: 2
; NumSGPRsForWavesPerEU: 28
; NumVGPRsForWavesPerEU: 44
; NamedBarCnt: 0
; Occupancy: 16
; WaveLimiterHint : 1
; COMPUTE_PGM_RSRC2:SCRATCH_EN: 1
; COMPUTE_PGM_RSRC2:USER_SGPR: 2
; COMPUTE_PGM_RSRC2:TRAP_HANDLER: 0
; COMPUTE_PGM_RSRC2:TGID_X_EN: 1
; COMPUTE_PGM_RSRC2:TGID_Y_EN: 0
; COMPUTE_PGM_RSRC2:TGID_Z_EN: 0
; COMPUTE_PGM_RSRC2:TIDIG_COMP_CNT: 0
	.section	.text._ZN9rocsparseL39bsrgeam_block_per_row_multipass_kernel2ILj256ELj16E21rocsparse_complex_numIdEEEv20rocsparse_direction_iiiNS_24const_host_device_scalarIT1_EEPKiS8_PKS5_S6_S8_S8_SA_S8_PiPS5_21rocsparse_index_base_SD_SD_b,"axG",@progbits,_ZN9rocsparseL39bsrgeam_block_per_row_multipass_kernel2ILj256ELj16E21rocsparse_complex_numIdEEEv20rocsparse_direction_iiiNS_24const_host_device_scalarIT1_EEPKiS8_PKS5_S6_S8_S8_SA_S8_PiPS5_21rocsparse_index_base_SD_SD_b,comdat
	.globl	_ZN9rocsparseL39bsrgeam_block_per_row_multipass_kernel2ILj256ELj16E21rocsparse_complex_numIdEEEv20rocsparse_direction_iiiNS_24const_host_device_scalarIT1_EEPKiS8_PKS5_S6_S8_S8_SA_S8_PiPS5_21rocsparse_index_base_SD_SD_b ; -- Begin function _ZN9rocsparseL39bsrgeam_block_per_row_multipass_kernel2ILj256ELj16E21rocsparse_complex_numIdEEEv20rocsparse_direction_iiiNS_24const_host_device_scalarIT1_EEPKiS8_PKS5_S6_S8_S8_SA_S8_PiPS5_21rocsparse_index_base_SD_SD_b
	.p2align	8
	.type	_ZN9rocsparseL39bsrgeam_block_per_row_multipass_kernel2ILj256ELj16E21rocsparse_complex_numIdEEEv20rocsparse_direction_iiiNS_24const_host_device_scalarIT1_EEPKiS8_PKS5_S6_S8_S8_SA_S8_PiPS5_21rocsparse_index_base_SD_SD_b,@function
_ZN9rocsparseL39bsrgeam_block_per_row_multipass_kernel2ILj256ELj16E21rocsparse_complex_numIdEEEv20rocsparse_direction_iiiNS_24const_host_device_scalarIT1_EEPKiS8_PKS5_S6_S8_S8_SA_S8_PiPS5_21rocsparse_index_base_SD_SD_b: ; @_ZN9rocsparseL39bsrgeam_block_per_row_multipass_kernel2ILj256ELj16E21rocsparse_complex_numIdEEEv20rocsparse_direction_iiiNS_24const_host_device_scalarIT1_EEPKiS8_PKS5_S6_S8_S8_SA_S8_PiPS5_21rocsparse_index_base_SD_SD_b
; %bb.0:
	s_clause 0x1
	s_load_b128 s[4:7], s[0:1], 0x78
	s_load_b128 s[8:11], s[0:1], 0x10
	v_mbcnt_lo_u32_b32 v1, -1, 0
	s_load_b64 s[12:13], s[0:1], 0x20
	s_delay_alu instid0(VALU_DEP_1) | instskip(NEXT) | instid1(VALU_DEP_1)
	v_dual_mov_b32 v2, 0 :: v_dual_lshlrev_b32 v3, 20, v1
	v_add_nc_u64_e32 v[2:3], src_flat_scratch_base_lo, v[2:3]
	s_wait_kmcnt 0x0
	s_bitcmp1_b32 s7, 0
	v_mov_b64_e32 v[4:5], s[8:9]
	s_cselect_b32 s2, -1, 0
	v_mov_b64_e32 v[12:13], s[10:11]
	s_delay_alu instid0(VALU_DEP_3)
	v_cndmask_b32_e64 v3, s9, v3, s2
	v_cndmask_b32_e64 v2, s8, v2, s2
	s_and_b32 vcc_lo, exec_lo, s2
	scratch_store_b64 off, v[4:5], off
	flat_load_b64 v[10:11], v[2:3]
	s_clause 0x1
	s_load_b64 s[14:15], s[0:1], 0x60
	s_load_b64 s[16:17], s[0:1], 0x48
	s_cbranch_vccnz .LBB30_2
; %bb.1:
	v_mov_b32_e32 v1, 0
	flat_load_b64 v[12:13], v1, s[8:9] offset:8
.LBB30_2:
	s_wait_xcnt 0x0
	s_load_b64 s[8:9], s[0:1], 0x38
	v_mov_b32_e32 v1, 0
	s_add_nc_u64 s[10:11], s[0:1], 56
	s_and_b32 s2, exec_lo, s2
	s_getreg_b32 s7, hwreg(HW_REG_IB_STS2, 6, 4)
	s_wait_kmcnt 0x0
	s_cselect_b32 s3, s11, s9
	s_cselect_b32 s2, s10, s8
	flat_load_b128 v[2:5], v1, s[2:3]
	s_wait_xcnt 0x0
	s_bfe_u32 s2, ttmp6, 0x4000c
	s_and_b32 s3, ttmp6, 15
	s_add_co_i32 s2, s2, 1
	s_delay_alu instid0(SALU_CYCLE_1) | instskip(NEXT) | instid1(SALU_CYCLE_1)
	s_mul_i32 s2, ttmp9, s2
	s_add_co_i32 s3, s3, s2
	s_cmp_eq_u32 s7, 0
	s_cselect_b32 s2, ttmp9, s3
	s_delay_alu instid0(SALU_CYCLE_1) | instskip(NEXT) | instid1(SALU_CYCLE_1)
	s_ashr_i32 s3, s2, 31
	s_lshl_b64 s[8:9], s[2:3], 2
	s_delay_alu instid0(SALU_CYCLE_1)
	s_add_nc_u64 s[2:3], s[12:13], s[8:9]
	s_add_nc_u64 s[10:11], s[16:17], s[8:9]
	s_load_b64 s[24:25], s[2:3], 0x0
	s_wait_xcnt 0x0
	s_clause 0x1
	s_load_b64 s[2:3], s[0:1], 0x8
	s_load_b64 s[16:17], s[0:1], 0x28
	;; [unrolled: 1-line block ×3, first 2 shown]
	s_add_nc_u64 s[22:23], s[14:15], s[8:9]
	s_wait_kmcnt 0x0
	s_mov_b32 s19, s2
	s_sub_co_i32 s18, s24, s4
	s_cmp_ge_i32 s24, s25
	s_cbranch_scc1 .LBB30_4
; %bb.3:
	s_ashr_i32 s19, s18, 31
	s_delay_alu instid0(SALU_CYCLE_1) | instskip(NEXT) | instid1(SALU_CYCLE_1)
	s_lshl_b64 s[8:9], s[18:19], 2
	s_add_nc_u64 s[8:9], s[16:17], s[8:9]
	s_load_b32 s7, s[8:9], 0x0
	s_wait_kmcnt 0x0
	s_sub_co_i32 s19, s7, s4
.LBB30_4:
	s_clause 0x2
	s_load_b128 s[8:11], s[0:1], 0x68
	s_load_b128 s[12:15], s[0:1], 0x50
	s_load_b64 s[20:21], s[0:1], 0x30
	s_load_b32 s28, s[22:23], 0x0
	s_wait_xcnt 0x0
	s_sub_co_i32 s22, s26, s5
	s_cmp_ge_i32 s26, s27
	s_mov_b32 s23, s2
	s_cbranch_scc1 .LBB30_6
; %bb.5:
	s_ashr_i32 s23, s22, 31
	s_delay_alu instid0(SALU_CYCLE_1)
	s_lshl_b64 s[30:31], s[22:23], 2
	s_wait_kmcnt 0x0
	s_add_nc_u64 s[30:31], s[12:13], s[30:31]
	s_load_b32 s7, s[30:31], 0x0
	s_wait_kmcnt 0x0
	s_sub_co_i32 s23, s7, s5
.LBB30_6:
	s_load_b32 s1, s[0:1], 0x0
	v_dual_lshrrev_b32 v14, 4, v0 :: v_dual_bitop2_b32 v1, 15, v0 bitop3:0x40
	s_wait_kmcnt 0x0
	s_sub_co_i32 s0, s28, s6
	v_dual_mov_b32 v6, 0 :: v_dual_lshlrev_b32 v15, 4, v0
	v_dual_mov_b32 v16, 1 :: v_dual_mov_b32 v17, s0
	v_cmp_gt_u32_e32 vcc_lo, s3, v1
	v_cmp_gt_i32_e64 s0, s3, v14
	s_delay_alu instid0(VALU_DEP_4)
	v_dual_mov_b32 v7, v6 :: v_dual_lshlrev_b32 v18, 8, v1
	s_sub_co_i32 s7, s25, s4
	s_sub_co_i32 s24, s27, s5
	s_min_i32 s28, s23, s19
	v_dual_mov_b32 v8, v6 :: v_dual_mov_b32 v9, v6
	s_and_b32 s25, vcc_lo, s0
	v_and_or_b32 v0, 0xf0, v0, v18
	s_mul_i32 s27, s3, s3
	s_cmp_lg_u32 s1, 0
	s_cselect_b32 s26, -1, 0
	s_branch .LBB30_9
.LBB30_7:                               ;   in Loop: Header=BB30_9 Depth=1
	s_wait_xcnt 0x0
	s_or_b32 exec_lo, exec_lo, s0
.LBB30_8:                               ;   in Loop: Header=BB30_9 Depth=1
	s_wait_storecnt 0x0
	s_barrier_signal -1
	s_barrier_wait -1
	ds_load_b32 v18, v6 offset:4096
	s_cmp_lt_i32 s29, s2
	s_mov_b32 s28, s29
	s_wait_dscnt 0x0
	s_barrier_signal -1
	s_barrier_wait -1
	v_add_nc_u32_e32 v17, v18, v17
	s_cbranch_scc0 .LBB30_47
.LBB30_9:                               ; =>This Loop Header: Depth=1
                                        ;     Child Loop BB30_11 Depth 2
                                        ;     Child Loop BB30_27 Depth 2
	s_cmp_ge_i32 s18, s7
	ds_store_b32 v6, v6 offset:4096
	ds_store_b128 v15, v[6:9]
	s_wait_storecnt 0x0
	s_wait_loadcnt_dscnt 0x0
	s_barrier_signal -1
	s_barrier_wait -1
	s_cbranch_scc1 .LBB30_24
; %bb.10:                               ;   in Loop: Header=BB30_9 Depth=1
	s_wait_xcnt 0x0
	s_mul_i32 s0, s3, s18
	s_ashr_i32 s19, s18, 31
	v_dual_add_nc_u32 v18, s0, v14 :: v_dual_add_nc_u32 v19, s0, v1
	s_lshl_b64 s[0:1], s[18:19], 2
	s_mov_b32 s23, 0
	s_add_nc_u64 s[0:1], s[16:17], s[0:1]
	s_delay_alu instid0(VALU_DEP_1)
	v_mad_u32 v18, s3, v18, v1
	v_mad_u32 v19, s3, v19, v14
	s_mov_b32 s29, s2
.LBB30_11:                              ;   Parent Loop BB30_9 Depth=1
                                        ; =>  This Inner Loop Header: Depth=2
	global_load_b32 v20, v6, s[0:1]
	s_mov_b32 s31, -1
	s_wait_loadcnt 0x0
	v_readfirstlane_b32 s19, v20
	s_sub_co_i32 s33, s19, s4
                                        ; implicit-def: $sgpr19
	s_delay_alu instid0(SALU_CYCLE_1)
	s_cmp_eq_u32 s33, s28
	s_cselect_b32 s30, -1, 0
	s_cmp_lg_u32 s33, s28
	s_cbranch_scc1 .LBB30_15
; %bb.12:                               ;   in Loop: Header=BB30_11 Depth=2
	s_and_not1_b32 vcc_lo, exec_lo, s31
	s_cbranch_vccz .LBB30_16
.LBB30_13:                              ;   in Loop: Header=BB30_11 Depth=2
	s_and_not1_b32 vcc_lo, exec_lo, s30
	s_mov_b32 s29, -1
	s_cbranch_vccnz .LBB30_21
.LBB30_14:                              ;   in Loop: Header=BB30_11 Depth=2
	s_add_co_i32 s18, s18, 1
	s_add_co_i32 s23, s23, s27
	s_cmp_ge_i32 s18, s7
	s_wait_xcnt 0x0
	s_add_nc_u64 s[0:1], s[0:1], 4
	s_cselect_b32 s29, -1, 0
	s_delay_alu instid0(SALU_CYCLE_1)
	s_and_not1_b32 vcc_lo, exec_lo, s29
	s_cbranch_vccnz .LBB30_22
	s_branch .LBB30_25
.LBB30_15:                              ;   in Loop: Header=BB30_11 Depth=2
	s_min_i32 s19, s33, s29
	s_cbranch_execnz .LBB30_13
.LBB30_16:                              ;   in Loop: Header=BB30_11 Depth=2
	ds_store_b32 v6, v16 offset:4096
	s_wait_xcnt 0x0
	s_and_saveexec_b32 s19, s25
	s_cbranch_execz .LBB30_20
; %bb.17:                               ;   in Loop: Header=BB30_11 Depth=2
	s_and_b32 vcc_lo, exec_lo, s26
	s_cbranch_vccz .LBB30_23
; %bb.18:                               ;   in Loop: Header=BB30_11 Depth=2
	v_add_nc_u32_e32 v20, s23, v19
	global_load_b128 v[20:23], v20, s[20:21] scale_offset
	s_wait_loadcnt 0x0
	v_mul_f64_e64 v[24:25], v[22:23], -v[12:13]
	v_mul_f64_e32 v[26:27], v[10:11], v[22:23]
	s_delay_alu instid0(VALU_DEP_2) | instskip(NEXT) | instid1(VALU_DEP_2)
	v_fmac_f64_e32 v[24:25], v[10:11], v[20:21]
	v_fmac_f64_e32 v[26:27], v[12:13], v[20:21]
	ds_store_b128 v0, v[24:27]
	s_cbranch_execnz .LBB30_20
.LBB30_19:                              ;   in Loop: Header=BB30_11 Depth=2
	s_wait_xcnt 0x0
	v_add_nc_u32_e32 v20, s23, v18
	global_load_b128 v[20:23], v20, s[20:21] scale_offset
	s_wait_loadcnt 0x0
	v_mul_f64_e64 v[24:25], v[22:23], -v[12:13]
	v_mul_f64_e32 v[26:27], v[10:11], v[22:23]
	s_delay_alu instid0(VALU_DEP_2) | instskip(NEXT) | instid1(VALU_DEP_2)
	v_fmac_f64_e32 v[24:25], v[10:11], v[20:21]
	v_fmac_f64_e32 v[26:27], v[12:13], v[20:21]
	ds_store_b128 v15, v[24:27]
.LBB30_20:                              ;   in Loop: Header=BB30_11 Depth=2
	s_wait_xcnt 0x0
	s_or_b32 exec_lo, exec_lo, s19
	s_mov_b32 s19, s29
	s_and_not1_b32 vcc_lo, exec_lo, s30
	s_mov_b32 s29, -1
	s_cbranch_vccz .LBB30_14
.LBB30_21:                              ;   in Loop: Header=BB30_11 Depth=2
                                        ; implicit-def: $sgpr23
                                        ; implicit-def: $sgpr0_sgpr1
	s_and_not1_b32 vcc_lo, exec_lo, s29
	s_cbranch_vccz .LBB30_25
.LBB30_22:                              ;   in Loop: Header=BB30_11 Depth=2
	s_mov_b32 s29, s19
	s_branch .LBB30_11
.LBB30_23:                              ;   in Loop: Header=BB30_11 Depth=2
	s_branch .LBB30_19
.LBB30_24:                              ;   in Loop: Header=BB30_9 Depth=1
	s_mov_b32 s19, s2
.LBB30_25:                              ;   in Loop: Header=BB30_9 Depth=1
	s_cmp_ge_i32 s22, s24
	s_wait_dscnt 0x0
	s_barrier_signal -1
	s_barrier_wait -1
	s_cbranch_scc1 .LBB30_40
; %bb.26:                               ;   in Loop: Header=BB30_9 Depth=1
	s_wait_xcnt 0x0
	s_mul_i32 s0, s3, s22
	s_ashr_i32 s23, s22, 31
	v_dual_add_nc_u32 v18, s0, v14 :: v_dual_add_nc_u32 v19, s0, v1
	s_lshl_b64 s[0:1], s[22:23], 2
	s_mov_b32 s23, 0
	s_add_nc_u64 s[0:1], s[12:13], s[0:1]
	s_delay_alu instid0(VALU_DEP_1)
	v_mad_u32 v18, s3, v18, v1
	v_mad_u32 v19, s3, v19, v14
.LBB30_27:                              ;   Parent Loop BB30_9 Depth=1
                                        ; =>  This Inner Loop Header: Depth=2
	global_load_b32 v20, v6, s[0:1]
	s_mov_b32 s31, -1
	s_wait_loadcnt 0x0
	v_readfirstlane_b32 s29, v20
	s_sub_co_i32 s33, s29, s5
                                        ; implicit-def: $sgpr29
	s_delay_alu instid0(SALU_CYCLE_1)
	s_cmp_eq_u32 s33, s28
	s_cselect_b32 s30, -1, 0
	s_cmp_lg_u32 s33, s28
	s_cbranch_scc1 .LBB30_31
; %bb.28:                               ;   in Loop: Header=BB30_27 Depth=2
	s_and_not1_b32 vcc_lo, exec_lo, s31
	s_cbranch_vccz .LBB30_32
.LBB30_29:                              ;   in Loop: Header=BB30_27 Depth=2
	s_and_not1_b32 vcc_lo, exec_lo, s30
	s_mov_b32 s19, -1
	s_cbranch_vccnz .LBB30_37
.LBB30_30:                              ;   in Loop: Header=BB30_27 Depth=2
	s_add_co_i32 s22, s22, 1
	s_add_co_i32 s23, s23, s27
	s_cmp_ge_i32 s22, s24
	s_wait_xcnt 0x0
	s_add_nc_u64 s[0:1], s[0:1], 4
	s_cselect_b32 s19, -1, 0
	s_delay_alu instid0(SALU_CYCLE_1)
	s_and_not1_b32 vcc_lo, exec_lo, s19
	s_cbranch_vccnz .LBB30_38
	s_branch .LBB30_41
.LBB30_31:                              ;   in Loop: Header=BB30_27 Depth=2
	s_min_i32 s29, s33, s19
	s_cbranch_execnz .LBB30_29
.LBB30_32:                              ;   in Loop: Header=BB30_27 Depth=2
	ds_store_b32 v6, v16 offset:4096
	s_wait_xcnt 0x0
	s_and_saveexec_b32 s29, s25
	s_cbranch_execz .LBB30_36
; %bb.33:                               ;   in Loop: Header=BB30_27 Depth=2
	s_and_b32 vcc_lo, exec_lo, s26
	s_cbranch_vccz .LBB30_39
; %bb.34:                               ;   in Loop: Header=BB30_27 Depth=2
	v_add_nc_u32_e32 v20, s23, v19
	ds_load_b128 v[24:27], v0
	global_load_b128 v[20:23], v20, s[14:15] scale_offset
	s_wait_loadcnt_dscnt 0x0
	v_fmac_f64_e32 v[24:25], v[2:3], v[20:21]
	v_fmac_f64_e32 v[26:27], v[4:5], v[20:21]
	s_delay_alu instid0(VALU_DEP_2) | instskip(NEXT) | instid1(VALU_DEP_2)
	v_fma_f64 v[24:25], -v[4:5], v[22:23], v[24:25]
	v_fmac_f64_e32 v[26:27], v[2:3], v[22:23]
	ds_store_b128 v0, v[24:27]
	s_cbranch_execnz .LBB30_36
.LBB30_35:                              ;   in Loop: Header=BB30_27 Depth=2
	s_wait_xcnt 0x0
	v_add_nc_u32_e32 v20, s23, v18
	ds_load_b128 v[24:27], v15
	global_load_b128 v[20:23], v20, s[14:15] scale_offset
	s_wait_loadcnt_dscnt 0x0
	v_fmac_f64_e32 v[24:25], v[2:3], v[20:21]
	v_fmac_f64_e32 v[26:27], v[4:5], v[20:21]
	s_delay_alu instid0(VALU_DEP_2) | instskip(NEXT) | instid1(VALU_DEP_2)
	v_fma_f64 v[24:25], -v[4:5], v[22:23], v[24:25]
	v_fmac_f64_e32 v[26:27], v[2:3], v[22:23]
	ds_store_b128 v15, v[24:27]
.LBB30_36:                              ;   in Loop: Header=BB30_27 Depth=2
	s_wait_xcnt 0x0
	s_or_b32 exec_lo, exec_lo, s29
	s_mov_b32 s29, s19
	s_and_not1_b32 vcc_lo, exec_lo, s30
	s_mov_b32 s19, -1
	s_cbranch_vccz .LBB30_30
.LBB30_37:                              ;   in Loop: Header=BB30_27 Depth=2
                                        ; implicit-def: $sgpr23
                                        ; implicit-def: $sgpr0_sgpr1
	s_and_not1_b32 vcc_lo, exec_lo, s19
	s_cbranch_vccz .LBB30_41
.LBB30_38:                              ;   in Loop: Header=BB30_27 Depth=2
	s_mov_b32 s19, s29
	s_branch .LBB30_27
.LBB30_39:                              ;   in Loop: Header=BB30_27 Depth=2
	s_branch .LBB30_35
.LBB30_40:                              ;   in Loop: Header=BB30_9 Depth=1
	s_mov_b32 s29, s19
.LBB30_41:                              ;   in Loop: Header=BB30_9 Depth=1
	s_wait_dscnt 0x0
	s_barrier_signal -1
	s_barrier_wait -1
	ds_load_b32 v18, v6 offset:4096
	s_wait_dscnt 0x0
	v_cmp_eq_u32_e32 vcc_lo, 0, v18
	s_cbranch_vccnz .LBB30_8
; %bb.42:                               ;   in Loop: Header=BB30_9 Depth=1
	s_wait_xcnt 0x0
	s_add_co_i32 s0, s28, s6
	s_delay_alu instid0(SALU_CYCLE_1)
	v_mov_b32_e32 v18, s0
	global_store_b32 v17, v18, s[8:9] scale_offset
	s_wait_xcnt 0x0
	s_and_saveexec_b32 s0, s25
	s_cbranch_execz .LBB30_7
; %bb.43:                               ;   in Loop: Header=BB30_9 Depth=1
	v_mul_lo_u32 v18, v17, s3
	s_and_b32 vcc_lo, exec_lo, s26
	s_cbranch_vccz .LBB30_45
; %bb.44:                               ;   in Loop: Header=BB30_9 Depth=1
	ds_load_2addr_b64 v[20:23], v0 offset1:1
	v_add_nc_u32_e32 v19, v18, v1
	s_delay_alu instid0(VALU_DEP_1)
	v_mad_u32 v19, v19, s3, v14
	s_wait_dscnt 0x0
	global_store_b128 v19, v[20:23], s[10:11] scale_offset
	s_cbranch_execnz .LBB30_7
	s_branch .LBB30_46
.LBB30_45:                              ;   in Loop: Header=BB30_9 Depth=1
.LBB30_46:                              ;   in Loop: Header=BB30_9 Depth=1
	s_wait_xcnt 0x0
	ds_load_2addr_b64 v[20:23], v15 offset1:1
	v_add_nc_u32_e32 v18, v18, v14
	s_delay_alu instid0(VALU_DEP_1)
	v_mad_u32 v18, v18, s3, v1
	s_wait_dscnt 0x0
	global_store_b128 v18, v[20:23], s[10:11] scale_offset
	s_branch .LBB30_7
.LBB30_47:
	s_endpgm
	.section	.rodata,"a",@progbits
	.p2align	6, 0x0
	.amdhsa_kernel _ZN9rocsparseL39bsrgeam_block_per_row_multipass_kernel2ILj256ELj16E21rocsparse_complex_numIdEEEv20rocsparse_direction_iiiNS_24const_host_device_scalarIT1_EEPKiS8_PKS5_S6_S8_S8_SA_S8_PiPS5_21rocsparse_index_base_SD_SD_b
		.amdhsa_group_segment_fixed_size 4104
		.amdhsa_private_segment_fixed_size 16
		.amdhsa_kernarg_size 136
		.amdhsa_user_sgpr_count 2
		.amdhsa_user_sgpr_dispatch_ptr 0
		.amdhsa_user_sgpr_queue_ptr 0
		.amdhsa_user_sgpr_kernarg_segment_ptr 1
		.amdhsa_user_sgpr_dispatch_id 0
		.amdhsa_user_sgpr_kernarg_preload_length 0
		.amdhsa_user_sgpr_kernarg_preload_offset 0
		.amdhsa_user_sgpr_private_segment_size 0
		.amdhsa_wavefront_size32 1
		.amdhsa_uses_dynamic_stack 0
		.amdhsa_enable_private_segment 1
		.amdhsa_system_sgpr_workgroup_id_x 1
		.amdhsa_system_sgpr_workgroup_id_y 0
		.amdhsa_system_sgpr_workgroup_id_z 0
		.amdhsa_system_sgpr_workgroup_info 0
		.amdhsa_system_vgpr_workitem_id 0
		.amdhsa_next_free_vgpr 28
		.amdhsa_next_free_sgpr 34
		.amdhsa_named_barrier_count 0
		.amdhsa_reserve_vcc 1
		.amdhsa_float_round_mode_32 0
		.amdhsa_float_round_mode_16_64 0
		.amdhsa_float_denorm_mode_32 3
		.amdhsa_float_denorm_mode_16_64 3
		.amdhsa_fp16_overflow 0
		.amdhsa_memory_ordered 1
		.amdhsa_forward_progress 1
		.amdhsa_inst_pref_size 13
		.amdhsa_round_robin_scheduling 0
		.amdhsa_exception_fp_ieee_invalid_op 0
		.amdhsa_exception_fp_denorm_src 0
		.amdhsa_exception_fp_ieee_div_zero 0
		.amdhsa_exception_fp_ieee_overflow 0
		.amdhsa_exception_fp_ieee_underflow 0
		.amdhsa_exception_fp_ieee_inexact 0
		.amdhsa_exception_int_div_zero 0
	.end_amdhsa_kernel
	.section	.text._ZN9rocsparseL39bsrgeam_block_per_row_multipass_kernel2ILj256ELj16E21rocsparse_complex_numIdEEEv20rocsparse_direction_iiiNS_24const_host_device_scalarIT1_EEPKiS8_PKS5_S6_S8_S8_SA_S8_PiPS5_21rocsparse_index_base_SD_SD_b,"axG",@progbits,_ZN9rocsparseL39bsrgeam_block_per_row_multipass_kernel2ILj256ELj16E21rocsparse_complex_numIdEEEv20rocsparse_direction_iiiNS_24const_host_device_scalarIT1_EEPKiS8_PKS5_S6_S8_S8_SA_S8_PiPS5_21rocsparse_index_base_SD_SD_b,comdat
.Lfunc_end30:
	.size	_ZN9rocsparseL39bsrgeam_block_per_row_multipass_kernel2ILj256ELj16E21rocsparse_complex_numIdEEEv20rocsparse_direction_iiiNS_24const_host_device_scalarIT1_EEPKiS8_PKS5_S6_S8_S8_SA_S8_PiPS5_21rocsparse_index_base_SD_SD_b, .Lfunc_end30-_ZN9rocsparseL39bsrgeam_block_per_row_multipass_kernel2ILj256ELj16E21rocsparse_complex_numIdEEEv20rocsparse_direction_iiiNS_24const_host_device_scalarIT1_EEPKiS8_PKS5_S6_S8_S8_SA_S8_PiPS5_21rocsparse_index_base_SD_SD_b
                                        ; -- End function
	.set _ZN9rocsparseL39bsrgeam_block_per_row_multipass_kernel2ILj256ELj16E21rocsparse_complex_numIdEEEv20rocsparse_direction_iiiNS_24const_host_device_scalarIT1_EEPKiS8_PKS5_S6_S8_S8_SA_S8_PiPS5_21rocsparse_index_base_SD_SD_b.num_vgpr, 28
	.set _ZN9rocsparseL39bsrgeam_block_per_row_multipass_kernel2ILj256ELj16E21rocsparse_complex_numIdEEEv20rocsparse_direction_iiiNS_24const_host_device_scalarIT1_EEPKiS8_PKS5_S6_S8_S8_SA_S8_PiPS5_21rocsparse_index_base_SD_SD_b.num_agpr, 0
	.set _ZN9rocsparseL39bsrgeam_block_per_row_multipass_kernel2ILj256ELj16E21rocsparse_complex_numIdEEEv20rocsparse_direction_iiiNS_24const_host_device_scalarIT1_EEPKiS8_PKS5_S6_S8_S8_SA_S8_PiPS5_21rocsparse_index_base_SD_SD_b.numbered_sgpr, 34
	.set _ZN9rocsparseL39bsrgeam_block_per_row_multipass_kernel2ILj256ELj16E21rocsparse_complex_numIdEEEv20rocsparse_direction_iiiNS_24const_host_device_scalarIT1_EEPKiS8_PKS5_S6_S8_S8_SA_S8_PiPS5_21rocsparse_index_base_SD_SD_b.num_named_barrier, 0
	.set _ZN9rocsparseL39bsrgeam_block_per_row_multipass_kernel2ILj256ELj16E21rocsparse_complex_numIdEEEv20rocsparse_direction_iiiNS_24const_host_device_scalarIT1_EEPKiS8_PKS5_S6_S8_S8_SA_S8_PiPS5_21rocsparse_index_base_SD_SD_b.private_seg_size, 16
	.set _ZN9rocsparseL39bsrgeam_block_per_row_multipass_kernel2ILj256ELj16E21rocsparse_complex_numIdEEEv20rocsparse_direction_iiiNS_24const_host_device_scalarIT1_EEPKiS8_PKS5_S6_S8_S8_SA_S8_PiPS5_21rocsparse_index_base_SD_SD_b.uses_vcc, 1
	.set _ZN9rocsparseL39bsrgeam_block_per_row_multipass_kernel2ILj256ELj16E21rocsparse_complex_numIdEEEv20rocsparse_direction_iiiNS_24const_host_device_scalarIT1_EEPKiS8_PKS5_S6_S8_S8_SA_S8_PiPS5_21rocsparse_index_base_SD_SD_b.uses_flat_scratch, 0
	.set _ZN9rocsparseL39bsrgeam_block_per_row_multipass_kernel2ILj256ELj16E21rocsparse_complex_numIdEEEv20rocsparse_direction_iiiNS_24const_host_device_scalarIT1_EEPKiS8_PKS5_S6_S8_S8_SA_S8_PiPS5_21rocsparse_index_base_SD_SD_b.has_dyn_sized_stack, 0
	.set _ZN9rocsparseL39bsrgeam_block_per_row_multipass_kernel2ILj256ELj16E21rocsparse_complex_numIdEEEv20rocsparse_direction_iiiNS_24const_host_device_scalarIT1_EEPKiS8_PKS5_S6_S8_S8_SA_S8_PiPS5_21rocsparse_index_base_SD_SD_b.has_recursion, 0
	.set _ZN9rocsparseL39bsrgeam_block_per_row_multipass_kernel2ILj256ELj16E21rocsparse_complex_numIdEEEv20rocsparse_direction_iiiNS_24const_host_device_scalarIT1_EEPKiS8_PKS5_S6_S8_S8_SA_S8_PiPS5_21rocsparse_index_base_SD_SD_b.has_indirect_call, 0
	.section	.AMDGPU.csdata,"",@progbits
; Kernel info:
; codeLenInByte = 1628
; TotalNumSgprs: 36
; NumVgprs: 28
; ScratchSize: 16
; MemoryBound: 0
; FloatMode: 240
; IeeeMode: 1
; LDSByteSize: 4104 bytes/workgroup (compile time only)
; SGPRBlocks: 0
; VGPRBlocks: 1
; NumSGPRsForWavesPerEU: 36
; NumVGPRsForWavesPerEU: 28
; NamedBarCnt: 0
; Occupancy: 16
; WaveLimiterHint : 1
; COMPUTE_PGM_RSRC2:SCRATCH_EN: 1
; COMPUTE_PGM_RSRC2:USER_SGPR: 2
; COMPUTE_PGM_RSRC2:TRAP_HANDLER: 0
; COMPUTE_PGM_RSRC2:TGID_X_EN: 1
; COMPUTE_PGM_RSRC2:TGID_Y_EN: 0
; COMPUTE_PGM_RSRC2:TGID_Z_EN: 0
; COMPUTE_PGM_RSRC2:TIDIG_COMP_CNT: 0
	.section	.text._ZN9rocsparseL39bsrgeam_block_per_row_multipass_kernel2ILj256ELj32E21rocsparse_complex_numIdEEEv20rocsparse_direction_iiiNS_24const_host_device_scalarIT1_EEPKiS8_PKS5_S6_S8_S8_SA_S8_PiPS5_21rocsparse_index_base_SD_SD_b,"axG",@progbits,_ZN9rocsparseL39bsrgeam_block_per_row_multipass_kernel2ILj256ELj32E21rocsparse_complex_numIdEEEv20rocsparse_direction_iiiNS_24const_host_device_scalarIT1_EEPKiS8_PKS5_S6_S8_S8_SA_S8_PiPS5_21rocsparse_index_base_SD_SD_b,comdat
	.globl	_ZN9rocsparseL39bsrgeam_block_per_row_multipass_kernel2ILj256ELj32E21rocsparse_complex_numIdEEEv20rocsparse_direction_iiiNS_24const_host_device_scalarIT1_EEPKiS8_PKS5_S6_S8_S8_SA_S8_PiPS5_21rocsparse_index_base_SD_SD_b ; -- Begin function _ZN9rocsparseL39bsrgeam_block_per_row_multipass_kernel2ILj256ELj32E21rocsparse_complex_numIdEEEv20rocsparse_direction_iiiNS_24const_host_device_scalarIT1_EEPKiS8_PKS5_S6_S8_S8_SA_S8_PiPS5_21rocsparse_index_base_SD_SD_b
	.p2align	8
	.type	_ZN9rocsparseL39bsrgeam_block_per_row_multipass_kernel2ILj256ELj32E21rocsparse_complex_numIdEEEv20rocsparse_direction_iiiNS_24const_host_device_scalarIT1_EEPKiS8_PKS5_S6_S8_S8_SA_S8_PiPS5_21rocsparse_index_base_SD_SD_b,@function
_ZN9rocsparseL39bsrgeam_block_per_row_multipass_kernel2ILj256ELj32E21rocsparse_complex_numIdEEEv20rocsparse_direction_iiiNS_24const_host_device_scalarIT1_EEPKiS8_PKS5_S6_S8_S8_SA_S8_PiPS5_21rocsparse_index_base_SD_SD_b: ; @_ZN9rocsparseL39bsrgeam_block_per_row_multipass_kernel2ILj256ELj32E21rocsparse_complex_numIdEEEv20rocsparse_direction_iiiNS_24const_host_device_scalarIT1_EEPKiS8_PKS5_S6_S8_S8_SA_S8_PiPS5_21rocsparse_index_base_SD_SD_b
; %bb.0:
	s_clause 0x1
	s_load_b128 s[4:7], s[0:1], 0x78
	s_load_b128 s[8:11], s[0:1], 0x10
	v_mbcnt_lo_u32_b32 v1, -1, 0
	s_load_b64 s[12:13], s[0:1], 0x20
	s_delay_alu instid0(VALU_DEP_1) | instskip(NEXT) | instid1(VALU_DEP_1)
	v_dual_mov_b32 v2, 0 :: v_dual_lshlrev_b32 v3, 20, v1
	v_add_nc_u64_e32 v[2:3], src_flat_scratch_base_lo, v[2:3]
	s_wait_kmcnt 0x0
	s_bitcmp1_b32 s7, 0
	v_mov_b64_e32 v[4:5], s[8:9]
	s_cselect_b32 s2, -1, 0
	v_mov_b64_e32 v[12:13], s[10:11]
	s_delay_alu instid0(VALU_DEP_3)
	v_cndmask_b32_e64 v3, s9, v3, s2
	v_cndmask_b32_e64 v2, s8, v2, s2
	s_and_b32 vcc_lo, exec_lo, s2
	scratch_store_b64 off, v[4:5], off
	flat_load_b64 v[10:11], v[2:3]
	s_clause 0x1
	s_load_b64 s[14:15], s[0:1], 0x60
	s_load_b64 s[16:17], s[0:1], 0x48
	s_cbranch_vccnz .LBB31_2
; %bb.1:
	v_mov_b32_e32 v1, 0
	flat_load_b64 v[12:13], v1, s[8:9] offset:8
.LBB31_2:
	s_wait_xcnt 0x0
	s_load_b64 s[8:9], s[0:1], 0x38
	v_mov_b32_e32 v1, 0
	s_add_nc_u64 s[10:11], s[0:1], 56
	s_and_b32 s2, exec_lo, s2
	s_getreg_b32 s7, hwreg(HW_REG_IB_STS2, 6, 4)
	s_wait_kmcnt 0x0
	s_cselect_b32 s3, s11, s9
	s_cselect_b32 s2, s10, s8
	flat_load_b128 v[2:5], v1, s[2:3]
	s_wait_xcnt 0x0
	s_bfe_u32 s2, ttmp6, 0x4000c
	s_and_b32 s3, ttmp6, 15
	s_add_co_i32 s2, s2, 1
	s_delay_alu instid0(SALU_CYCLE_1) | instskip(NEXT) | instid1(SALU_CYCLE_1)
	s_mul_i32 s2, ttmp9, s2
	s_add_co_i32 s3, s3, s2
	s_cmp_eq_u32 s7, 0
	s_cselect_b32 s2, ttmp9, s3
	s_delay_alu instid0(SALU_CYCLE_1) | instskip(NEXT) | instid1(SALU_CYCLE_1)
	s_ashr_i32 s3, s2, 31
	s_lshl_b64 s[8:9], s[2:3], 2
	s_delay_alu instid0(SALU_CYCLE_1)
	s_add_nc_u64 s[2:3], s[12:13], s[8:9]
	s_add_nc_u64 s[10:11], s[16:17], s[8:9]
	s_load_b64 s[24:25], s[2:3], 0x0
	s_wait_xcnt 0x0
	s_clause 0x1
	s_load_b64 s[2:3], s[0:1], 0x8
	s_load_b64 s[16:17], s[0:1], 0x28
	;; [unrolled: 1-line block ×3, first 2 shown]
	s_add_nc_u64 s[22:23], s[14:15], s[8:9]
	s_wait_kmcnt 0x0
	s_mov_b32 s19, s2
	s_sub_co_i32 s18, s24, s4
	s_cmp_ge_i32 s24, s25
	s_cbranch_scc1 .LBB31_4
; %bb.3:
	s_ashr_i32 s19, s18, 31
	s_delay_alu instid0(SALU_CYCLE_1) | instskip(NEXT) | instid1(SALU_CYCLE_1)
	s_lshl_b64 s[8:9], s[18:19], 2
	s_add_nc_u64 s[8:9], s[16:17], s[8:9]
	s_load_b32 s7, s[8:9], 0x0
	s_wait_kmcnt 0x0
	s_sub_co_i32 s19, s7, s4
.LBB31_4:
	s_clause 0x2
	s_load_b128 s[8:11], s[0:1], 0x68
	s_load_b128 s[12:15], s[0:1], 0x50
	s_load_b64 s[20:21], s[0:1], 0x30
	s_load_b32 s28, s[22:23], 0x0
	s_wait_xcnt 0x0
	s_sub_co_i32 s22, s26, s5
	s_cmp_ge_i32 s26, s27
	s_mov_b32 s23, s2
	s_cbranch_scc1 .LBB31_6
; %bb.5:
	s_ashr_i32 s23, s22, 31
	s_delay_alu instid0(SALU_CYCLE_1)
	s_lshl_b64 s[30:31], s[22:23], 2
	s_wait_kmcnt 0x0
	s_add_nc_u64 s[30:31], s[12:13], s[30:31]
	s_load_b32 s7, s[30:31], 0x0
	s_wait_kmcnt 0x0
	s_sub_co_i32 s23, s7, s5
.LBB31_6:
	s_load_b32 s26, s[0:1], 0x0
	v_dual_lshrrev_b32 v1, 3, v0 :: v_dual_bitop2_b32 v0, 7, v0 bitop3:0x40
	s_wait_kmcnt 0x0
	s_sub_co_i32 s28, s28, s6
	s_mov_b32 s36, 0
	s_sub_co_i32 s7, s25, s4
	v_dual_lshlrev_b32 v6, 9, v1 :: v_dual_bitop2_b32 v14, 8, v0 bitop3:0x54
	v_dual_mov_b32 v25, s28 :: v_dual_bitop2_b32 v16, 16, v0 bitop3:0x54
	v_dual_mov_b32 v26, 0 :: v_dual_bitop2_b32 v21, 24, v0 bitop3:0x54
	s_delay_alu instid0(VALU_DEP_3)
	v_lshl_or_b32 v15, v0, 4, v6
	v_mad_i32_i24 v6, 0xfffffe10, v1, v6
	v_cmp_gt_i32_e32 vcc_lo, s3, v1
	v_cmp_gt_u32_e64 s0, s3, v0
	v_cmp_gt_u32_e64 s1, s3, v14
	s_sub_co_i32 s24, s27, s5
	s_min_i32 s31, s23, s19
	s_mov_b32 s37, s36
	s_cmp_lg_u32 s26, 0
	s_mov_b32 s38, s36
	s_mov_b32 s39, s36
	v_lshl_add_u32 v20, v0, 9, v6
	v_lshl_add_u32 v22, v14, 9, v6
	;; [unrolled: 1-line block ×4, first 2 shown]
	v_mov_b64_e32 v[6:7], s[36:37]
	s_cselect_b32 s25, -1, 0
	s_and_b32 s26, vcc_lo, s0
	s_and_b32 s27, vcc_lo, s1
	v_cmp_gt_u32_e64 s0, s3, v16
	v_cmp_gt_u32_e64 s1, s3, v21
	v_mov_b64_e32 v[8:9], s[38:39]
	v_or_b32_e32 v17, 0x80, v15
	v_or_b32_e32 v18, 0x100, v15
	v_or_b32_e32 v19, 0x180, v15
	v_mov_b32_e32 v27, 1
	s_and_b32 s28, vcc_lo, s0
	s_and_b32 s29, vcc_lo, s1
	s_mul_i32 s30, s3, s3
	s_branch .LBB31_10
.LBB31_7:                               ;   in Loop: Header=BB31_10 Depth=1
	ds_load_2addr_b64 v[30:33], v30 offset1:1
	s_wait_dscnt 0x0
	global_store_b128 v29, v[30:33], s[10:11] scale_offset
.LBB31_8:                               ;   in Loop: Header=BB31_10 Depth=1
	s_wait_xcnt 0x0
	s_or_b32 exec_lo, exec_lo, s0
.LBB31_9:                               ;   in Loop: Header=BB31_10 Depth=1
	s_wait_storecnt 0x0
	s_barrier_signal -1
	s_barrier_wait -1
	ds_load_b32 v28, v26 offset:16384
	s_cmp_lt_i32 s34, s2
	s_mov_b32 s31, s34
	s_wait_dscnt 0x0
	s_barrier_signal -1
	s_barrier_wait -1
	v_add_nc_u32_e32 v25, v28, v25
	s_cbranch_scc0 .LBB31_96
.LBB31_10:                              ; =>This Loop Header: Depth=1
                                        ;     Child Loop BB31_12 Depth 2
                                        ;     Child Loop BB31_43 Depth 2
	s_cmp_ge_i32 s18, s7
	ds_store_b32 v26, v26 offset:16384
	ds_store_b128 v15, v[6:9]
	ds_store_b128 v15, v[6:9] offset:128
	ds_store_b128 v15, v[6:9] offset:256
	;; [unrolled: 1-line block ×3, first 2 shown]
	s_wait_storecnt 0x0
	s_wait_loadcnt_dscnt 0x0
	s_barrier_signal -1
	s_barrier_wait -1
	s_cbranch_scc1 .LBB31_40
; %bb.11:                               ;   in Loop: Header=BB31_10 Depth=1
	s_wait_xcnt 0x0
	s_mul_i32 s0, s3, s18
	s_ashr_i32 s19, s18, 31
	v_dual_add_nc_u32 v28, s0, v0 :: v_dual_add_nc_u32 v29, s0, v14
	v_dual_add_nc_u32 v30, s0, v16 :: v_dual_add_nc_u32 v31, s0, v21
	v_add_nc_u32_e32 v32, s0, v1
	s_delay_alu instid0(VALU_DEP_3) | instskip(NEXT) | instid1(VALU_DEP_4)
	v_mad_u32 v28, s3, v28, v1
	v_mad_u32 v29, s3, v29, v1
	s_delay_alu instid0(VALU_DEP_4)
	v_mad_u32 v30, s3, v30, v1
	v_mad_u32 v31, s3, v31, v1
	;; [unrolled: 1-line block ×3, first 2 shown]
	s_lshl_b64 s[0:1], s[18:19], 2
	s_mov_b32 s23, 0
	s_add_nc_u64 s[0:1], s[16:17], s[0:1]
	s_mov_b32 s33, s2
.LBB31_12:                              ;   Parent Loop BB31_10 Depth=1
                                        ; =>  This Inner Loop Header: Depth=2
	global_load_b32 v33, v26, s[0:1]
	s_mov_b32 s35, -1
	s_wait_loadcnt 0x0
	v_readfirstlane_b32 s19, v33
	s_sub_co_i32 s36, s19, s4
                                        ; implicit-def: $sgpr19
	s_delay_alu instid0(SALU_CYCLE_1)
	s_cmp_eq_u32 s36, s31
	s_cselect_b32 s34, -1, 0
	s_cmp_lg_u32 s36, s31
	s_cbranch_scc1 .LBB31_16
; %bb.13:                               ;   in Loop: Header=BB31_12 Depth=2
	s_and_not1_b32 vcc_lo, exec_lo, s35
	s_cbranch_vccz .LBB31_17
.LBB31_14:                              ;   in Loop: Header=BB31_12 Depth=2
	s_and_not1_b32 vcc_lo, exec_lo, s34
	s_mov_b32 s33, -1
	s_cbranch_vccnz .LBB31_34
.LBB31_15:                              ;   in Loop: Header=BB31_12 Depth=2
	s_add_co_i32 s18, s18, 1
	s_add_co_i32 s23, s23, s30
	s_cmp_ge_i32 s18, s7
	s_wait_xcnt 0x0
	s_add_nc_u64 s[0:1], s[0:1], 4
	s_cselect_b32 s33, -1, 0
	s_delay_alu instid0(SALU_CYCLE_1)
	s_and_not1_b32 vcc_lo, exec_lo, s33
	s_cbranch_vccnz .LBB31_35
	s_branch .LBB31_41
.LBB31_16:                              ;   in Loop: Header=BB31_12 Depth=2
	s_min_i32 s19, s36, s33
	s_cbranch_execnz .LBB31_14
.LBB31_17:                              ;   in Loop: Header=BB31_12 Depth=2
	ds_store_b32 v26, v27 offset:16384
	s_wait_xcnt 0x0
	s_and_saveexec_b32 s19, s26
	s_cbranch_execz .LBB31_21
; %bb.18:                               ;   in Loop: Header=BB31_12 Depth=2
	s_and_b32 vcc_lo, exec_lo, s25
	s_cbranch_vccz .LBB31_36
; %bb.19:                               ;   in Loop: Header=BB31_12 Depth=2
	v_add_nc_u32_e32 v33, s23, v28
	global_load_b128 v[34:37], v33, s[20:21] scale_offset
	s_wait_loadcnt 0x0
	v_mul_f64_e64 v[38:39], v[36:37], -v[12:13]
	v_mul_f64_e32 v[40:41], v[10:11], v[36:37]
	s_delay_alu instid0(VALU_DEP_2) | instskip(NEXT) | instid1(VALU_DEP_2)
	v_fmac_f64_e32 v[38:39], v[10:11], v[34:35]
	v_fmac_f64_e32 v[40:41], v[12:13], v[34:35]
	ds_store_b128 v20, v[38:41]
	s_cbranch_execnz .LBB31_21
.LBB31_20:                              ;   in Loop: Header=BB31_12 Depth=2
	s_wait_xcnt 0x0
	v_add_nc_u32_e32 v33, s23, v32
	global_load_b128 v[34:37], v33, s[20:21] scale_offset
	s_wait_loadcnt 0x0
	v_mul_f64_e64 v[38:39], v[36:37], -v[12:13]
	v_mul_f64_e32 v[40:41], v[10:11], v[36:37]
	s_delay_alu instid0(VALU_DEP_2) | instskip(NEXT) | instid1(VALU_DEP_2)
	v_fmac_f64_e32 v[38:39], v[10:11], v[34:35]
	v_fmac_f64_e32 v[40:41], v[12:13], v[34:35]
	ds_store_b128 v15, v[38:41]
.LBB31_21:                              ;   in Loop: Header=BB31_12 Depth=2
	s_wait_xcnt 0x0
	s_or_b32 exec_lo, exec_lo, s19
	s_and_saveexec_b32 s19, s27
	s_cbranch_execz .LBB31_25
; %bb.22:                               ;   in Loop: Header=BB31_12 Depth=2
	s_and_not1_b32 vcc_lo, exec_lo, s25
	s_cbranch_vccnz .LBB31_37
; %bb.23:                               ;   in Loop: Header=BB31_12 Depth=2
	v_add_nc_u32_e32 v33, s23, v29
	global_load_b128 v[34:37], v33, s[20:21] scale_offset
	s_wait_loadcnt 0x0
	v_mul_f64_e64 v[38:39], v[36:37], -v[12:13]
	v_mul_f64_e32 v[40:41], v[10:11], v[36:37]
	s_delay_alu instid0(VALU_DEP_2) | instskip(NEXT) | instid1(VALU_DEP_2)
	v_fmac_f64_e32 v[38:39], v[10:11], v[34:35]
	v_fmac_f64_e32 v[40:41], v[12:13], v[34:35]
	ds_store_b128 v22, v[38:41]
	s_cbranch_execnz .LBB31_25
.LBB31_24:                              ;   in Loop: Header=BB31_12 Depth=2
	v_add3_u32 v33, v32, s23, 8
	global_load_b128 v[34:37], v33, s[20:21] scale_offset
	s_wait_loadcnt 0x0
	v_mul_f64_e64 v[38:39], v[36:37], -v[12:13]
	v_mul_f64_e32 v[40:41], v[10:11], v[36:37]
	s_delay_alu instid0(VALU_DEP_2) | instskip(NEXT) | instid1(VALU_DEP_2)
	v_fmac_f64_e32 v[38:39], v[10:11], v[34:35]
	v_fmac_f64_e32 v[40:41], v[12:13], v[34:35]
	ds_store_b128 v15, v[38:41] offset:128
.LBB31_25:                              ;   in Loop: Header=BB31_12 Depth=2
	s_or_b32 exec_lo, exec_lo, s19
	s_and_saveexec_b32 s19, s28
	s_cbranch_execz .LBB31_29
; %bb.26:                               ;   in Loop: Header=BB31_12 Depth=2
	s_and_not1_b32 vcc_lo, exec_lo, s25
	s_cbranch_vccnz .LBB31_38
; %bb.27:                               ;   in Loop: Header=BB31_12 Depth=2
	v_add_nc_u32_e32 v33, s23, v30
	global_load_b128 v[34:37], v33, s[20:21] scale_offset
	s_wait_loadcnt 0x0
	v_mul_f64_e64 v[38:39], v[36:37], -v[12:13]
	v_mul_f64_e32 v[40:41], v[10:11], v[36:37]
	s_delay_alu instid0(VALU_DEP_2) | instskip(NEXT) | instid1(VALU_DEP_2)
	v_fmac_f64_e32 v[38:39], v[10:11], v[34:35]
	v_fmac_f64_e32 v[40:41], v[12:13], v[34:35]
	ds_store_b128 v23, v[38:41]
	s_cbranch_execnz .LBB31_29
.LBB31_28:                              ;   in Loop: Header=BB31_12 Depth=2
	v_add3_u32 v33, v32, s23, 16
	global_load_b128 v[34:37], v33, s[20:21] scale_offset
	s_wait_loadcnt 0x0
	v_mul_f64_e64 v[38:39], v[36:37], -v[12:13]
	v_mul_f64_e32 v[40:41], v[10:11], v[36:37]
	s_delay_alu instid0(VALU_DEP_2) | instskip(NEXT) | instid1(VALU_DEP_2)
	v_fmac_f64_e32 v[38:39], v[10:11], v[34:35]
	v_fmac_f64_e32 v[40:41], v[12:13], v[34:35]
	ds_store_b128 v15, v[38:41] offset:256
.LBB31_29:                              ;   in Loop: Header=BB31_12 Depth=2
	s_or_b32 exec_lo, exec_lo, s19
	s_and_saveexec_b32 s19, s29
	s_cbranch_execz .LBB31_33
; %bb.30:                               ;   in Loop: Header=BB31_12 Depth=2
	s_and_not1_b32 vcc_lo, exec_lo, s25
	s_cbranch_vccnz .LBB31_39
; %bb.31:                               ;   in Loop: Header=BB31_12 Depth=2
	v_add_nc_u32_e32 v33, s23, v31
	global_load_b128 v[34:37], v33, s[20:21] scale_offset
	s_wait_loadcnt 0x0
	v_mul_f64_e64 v[38:39], v[36:37], -v[12:13]
	v_mul_f64_e32 v[40:41], v[10:11], v[36:37]
	s_delay_alu instid0(VALU_DEP_2) | instskip(NEXT) | instid1(VALU_DEP_2)
	v_fmac_f64_e32 v[38:39], v[10:11], v[34:35]
	v_fmac_f64_e32 v[40:41], v[12:13], v[34:35]
	ds_store_b128 v24, v[38:41]
	s_cbranch_execnz .LBB31_33
.LBB31_32:                              ;   in Loop: Header=BB31_12 Depth=2
	v_add3_u32 v33, v32, s23, 24
	global_load_b128 v[34:37], v33, s[20:21] scale_offset
	s_wait_loadcnt 0x0
	v_mul_f64_e64 v[38:39], v[36:37], -v[12:13]
	v_mul_f64_e32 v[40:41], v[10:11], v[36:37]
	s_delay_alu instid0(VALU_DEP_2) | instskip(NEXT) | instid1(VALU_DEP_2)
	v_fmac_f64_e32 v[38:39], v[10:11], v[34:35]
	v_fmac_f64_e32 v[40:41], v[12:13], v[34:35]
	ds_store_b128 v15, v[38:41] offset:384
.LBB31_33:                              ;   in Loop: Header=BB31_12 Depth=2
	s_or_b32 exec_lo, exec_lo, s19
	s_mov_b32 s19, s33
	s_and_not1_b32 vcc_lo, exec_lo, s34
	s_mov_b32 s33, -1
	s_cbranch_vccz .LBB31_15
.LBB31_34:                              ;   in Loop: Header=BB31_12 Depth=2
                                        ; implicit-def: $sgpr23
                                        ; implicit-def: $sgpr0_sgpr1
	s_and_not1_b32 vcc_lo, exec_lo, s33
	s_cbranch_vccz .LBB31_41
.LBB31_35:                              ;   in Loop: Header=BB31_12 Depth=2
	s_mov_b32 s33, s19
	s_branch .LBB31_12
.LBB31_36:                              ;   in Loop: Header=BB31_12 Depth=2
	s_branch .LBB31_20
.LBB31_37:                              ;   in Loop: Header=BB31_12 Depth=2
	s_branch .LBB31_24
.LBB31_38:                              ;   in Loop: Header=BB31_12 Depth=2
	s_branch .LBB31_28
.LBB31_39:                              ;   in Loop: Header=BB31_12 Depth=2
	s_branch .LBB31_32
.LBB31_40:                              ;   in Loop: Header=BB31_10 Depth=1
	s_mov_b32 s19, s2
.LBB31_41:                              ;   in Loop: Header=BB31_10 Depth=1
	s_cmp_ge_i32 s22, s24
	s_wait_dscnt 0x0
	s_barrier_signal -1
	s_barrier_wait -1
	s_cbranch_scc1 .LBB31_71
; %bb.42:                               ;   in Loop: Header=BB31_10 Depth=1
	s_wait_xcnt 0x0
	s_mul_i32 s0, s3, s22
	s_ashr_i32 s23, s22, 31
	v_dual_add_nc_u32 v28, s0, v0 :: v_dual_add_nc_u32 v29, s0, v14
	v_dual_add_nc_u32 v30, s0, v16 :: v_dual_add_nc_u32 v31, s0, v21
	v_add_nc_u32_e32 v32, s0, v1
	s_delay_alu instid0(VALU_DEP_3) | instskip(NEXT) | instid1(VALU_DEP_4)
	v_mad_u32 v28, s3, v28, v1
	v_mad_u32 v29, s3, v29, v1
	s_delay_alu instid0(VALU_DEP_4)
	v_mad_u32 v30, s3, v30, v1
	v_mad_u32 v31, s3, v31, v1
	;; [unrolled: 1-line block ×3, first 2 shown]
	s_lshl_b64 s[0:1], s[22:23], 2
	s_mov_b32 s23, 0
	s_add_nc_u64 s[0:1], s[12:13], s[0:1]
.LBB31_43:                              ;   Parent Loop BB31_10 Depth=1
                                        ; =>  This Inner Loop Header: Depth=2
	global_load_b32 v33, v26, s[0:1]
	s_mov_b32 s35, -1
                                        ; implicit-def: $sgpr34
	s_wait_loadcnt 0x0
	v_readfirstlane_b32 s33, v33
	s_sub_co_i32 s36, s33, s5
	s_delay_alu instid0(SALU_CYCLE_1)
	s_cmp_eq_u32 s36, s31
	s_cselect_b32 s33, -1, 0
	s_cmp_lg_u32 s36, s31
	s_cbranch_scc1 .LBB31_47
; %bb.44:                               ;   in Loop: Header=BB31_43 Depth=2
	s_and_not1_b32 vcc_lo, exec_lo, s35
	s_cbranch_vccz .LBB31_48
.LBB31_45:                              ;   in Loop: Header=BB31_43 Depth=2
	s_and_not1_b32 vcc_lo, exec_lo, s33
	s_mov_b32 s19, -1
	s_cbranch_vccnz .LBB31_65
.LBB31_46:                              ;   in Loop: Header=BB31_43 Depth=2
	s_add_co_i32 s22, s22, 1
	s_add_co_i32 s23, s23, s30
	s_cmp_ge_i32 s22, s24
	s_wait_xcnt 0x0
	s_add_nc_u64 s[0:1], s[0:1], 4
	s_cselect_b32 s19, -1, 0
	s_delay_alu instid0(SALU_CYCLE_1)
	s_and_not1_b32 vcc_lo, exec_lo, s19
	s_cbranch_vccnz .LBB31_66
	s_branch .LBB31_72
.LBB31_47:                              ;   in Loop: Header=BB31_43 Depth=2
	s_min_i32 s34, s36, s19
	s_cbranch_execnz .LBB31_45
.LBB31_48:                              ;   in Loop: Header=BB31_43 Depth=2
	ds_store_b32 v26, v27 offset:16384
	s_wait_xcnt 0x0
	s_and_saveexec_b32 s34, s26
	s_cbranch_execz .LBB31_52
; %bb.49:                               ;   in Loop: Header=BB31_43 Depth=2
	s_and_b32 vcc_lo, exec_lo, s25
	s_cbranch_vccz .LBB31_67
; %bb.50:                               ;   in Loop: Header=BB31_43 Depth=2
	v_add_nc_u32_e32 v33, s23, v28
	ds_load_b128 v[38:41], v20
	global_load_b128 v[34:37], v33, s[14:15] scale_offset
	s_wait_loadcnt_dscnt 0x0
	v_fmac_f64_e32 v[38:39], v[2:3], v[34:35]
	v_fmac_f64_e32 v[40:41], v[4:5], v[34:35]
	s_delay_alu instid0(VALU_DEP_2) | instskip(NEXT) | instid1(VALU_DEP_2)
	v_fma_f64 v[38:39], -v[4:5], v[36:37], v[38:39]
	v_fmac_f64_e32 v[40:41], v[2:3], v[36:37]
	ds_store_b128 v20, v[38:41]
	s_cbranch_execnz .LBB31_52
.LBB31_51:                              ;   in Loop: Header=BB31_43 Depth=2
	s_wait_xcnt 0x0
	v_add_nc_u32_e32 v33, s23, v32
	ds_load_b128 v[38:41], v15
	global_load_b128 v[34:37], v33, s[14:15] scale_offset
	s_wait_loadcnt_dscnt 0x0
	v_fmac_f64_e32 v[38:39], v[2:3], v[34:35]
	v_fmac_f64_e32 v[40:41], v[4:5], v[34:35]
	s_delay_alu instid0(VALU_DEP_2) | instskip(NEXT) | instid1(VALU_DEP_2)
	v_fma_f64 v[38:39], -v[4:5], v[36:37], v[38:39]
	v_fmac_f64_e32 v[40:41], v[2:3], v[36:37]
	ds_store_b128 v15, v[38:41]
.LBB31_52:                              ;   in Loop: Header=BB31_43 Depth=2
	s_wait_xcnt 0x0
	s_or_b32 exec_lo, exec_lo, s34
	s_and_saveexec_b32 s34, s27
	s_cbranch_execz .LBB31_56
; %bb.53:                               ;   in Loop: Header=BB31_43 Depth=2
	s_and_not1_b32 vcc_lo, exec_lo, s25
	s_cbranch_vccnz .LBB31_68
; %bb.54:                               ;   in Loop: Header=BB31_43 Depth=2
	v_add_nc_u32_e32 v33, s23, v29
	ds_load_b128 v[38:41], v22
	global_load_b128 v[34:37], v33, s[14:15] scale_offset
	s_wait_loadcnt_dscnt 0x0
	v_fmac_f64_e32 v[38:39], v[2:3], v[34:35]
	v_fmac_f64_e32 v[40:41], v[4:5], v[34:35]
	s_delay_alu instid0(VALU_DEP_2) | instskip(NEXT) | instid1(VALU_DEP_2)
	v_fma_f64 v[38:39], -v[4:5], v[36:37], v[38:39]
	v_fmac_f64_e32 v[40:41], v[2:3], v[36:37]
	ds_store_b128 v22, v[38:41]
	s_cbranch_execnz .LBB31_56
.LBB31_55:                              ;   in Loop: Header=BB31_43 Depth=2
	v_add3_u32 v33, v32, s23, 8
	ds_load_b128 v[38:41], v15 offset:128
	global_load_b128 v[34:37], v33, s[14:15] scale_offset
	s_wait_loadcnt_dscnt 0x0
	v_fmac_f64_e32 v[38:39], v[2:3], v[34:35]
	v_fmac_f64_e32 v[40:41], v[4:5], v[34:35]
	s_delay_alu instid0(VALU_DEP_2) | instskip(NEXT) | instid1(VALU_DEP_2)
	v_fma_f64 v[38:39], -v[4:5], v[36:37], v[38:39]
	v_fmac_f64_e32 v[40:41], v[2:3], v[36:37]
	ds_store_b128 v15, v[38:41] offset:128
.LBB31_56:                              ;   in Loop: Header=BB31_43 Depth=2
	s_or_b32 exec_lo, exec_lo, s34
	s_and_saveexec_b32 s34, s28
	s_cbranch_execz .LBB31_60
; %bb.57:                               ;   in Loop: Header=BB31_43 Depth=2
	s_and_not1_b32 vcc_lo, exec_lo, s25
	s_cbranch_vccnz .LBB31_69
; %bb.58:                               ;   in Loop: Header=BB31_43 Depth=2
	v_add_nc_u32_e32 v33, s23, v30
	ds_load_b128 v[38:41], v23
	global_load_b128 v[34:37], v33, s[14:15] scale_offset
	s_wait_loadcnt_dscnt 0x0
	v_fmac_f64_e32 v[38:39], v[2:3], v[34:35]
	v_fmac_f64_e32 v[40:41], v[4:5], v[34:35]
	s_delay_alu instid0(VALU_DEP_2) | instskip(NEXT) | instid1(VALU_DEP_2)
	v_fma_f64 v[38:39], -v[4:5], v[36:37], v[38:39]
	v_fmac_f64_e32 v[40:41], v[2:3], v[36:37]
	ds_store_b128 v23, v[38:41]
	s_cbranch_execnz .LBB31_60
.LBB31_59:                              ;   in Loop: Header=BB31_43 Depth=2
	v_add3_u32 v33, v32, s23, 16
	ds_load_b128 v[38:41], v15 offset:256
	global_load_b128 v[34:37], v33, s[14:15] scale_offset
	s_wait_loadcnt_dscnt 0x0
	v_fmac_f64_e32 v[38:39], v[2:3], v[34:35]
	v_fmac_f64_e32 v[40:41], v[4:5], v[34:35]
	s_delay_alu instid0(VALU_DEP_2) | instskip(NEXT) | instid1(VALU_DEP_2)
	v_fma_f64 v[38:39], -v[4:5], v[36:37], v[38:39]
	v_fmac_f64_e32 v[40:41], v[2:3], v[36:37]
	ds_store_b128 v15, v[38:41] offset:256
.LBB31_60:                              ;   in Loop: Header=BB31_43 Depth=2
	s_or_b32 exec_lo, exec_lo, s34
	s_and_saveexec_b32 s34, s29
	s_cbranch_execz .LBB31_64
; %bb.61:                               ;   in Loop: Header=BB31_43 Depth=2
	s_and_not1_b32 vcc_lo, exec_lo, s25
	s_cbranch_vccnz .LBB31_70
; %bb.62:                               ;   in Loop: Header=BB31_43 Depth=2
	v_add_nc_u32_e32 v33, s23, v31
	ds_load_b128 v[38:41], v24
	global_load_b128 v[34:37], v33, s[14:15] scale_offset
	s_wait_loadcnt_dscnt 0x0
	v_fmac_f64_e32 v[38:39], v[2:3], v[34:35]
	v_fmac_f64_e32 v[40:41], v[4:5], v[34:35]
	s_delay_alu instid0(VALU_DEP_2) | instskip(NEXT) | instid1(VALU_DEP_2)
	v_fma_f64 v[38:39], -v[4:5], v[36:37], v[38:39]
	v_fmac_f64_e32 v[40:41], v[2:3], v[36:37]
	ds_store_b128 v24, v[38:41]
	s_cbranch_execnz .LBB31_64
.LBB31_63:                              ;   in Loop: Header=BB31_43 Depth=2
	v_add3_u32 v33, v32, s23, 24
	ds_load_b128 v[38:41], v15 offset:384
	global_load_b128 v[34:37], v33, s[14:15] scale_offset
	s_wait_loadcnt_dscnt 0x0
	v_fmac_f64_e32 v[38:39], v[2:3], v[34:35]
	v_fmac_f64_e32 v[40:41], v[4:5], v[34:35]
	s_delay_alu instid0(VALU_DEP_2) | instskip(NEXT) | instid1(VALU_DEP_2)
	v_fma_f64 v[38:39], -v[4:5], v[36:37], v[38:39]
	v_fmac_f64_e32 v[40:41], v[2:3], v[36:37]
	ds_store_b128 v15, v[38:41] offset:384
.LBB31_64:                              ;   in Loop: Header=BB31_43 Depth=2
	s_or_b32 exec_lo, exec_lo, s34
	s_mov_b32 s34, s19
	s_and_not1_b32 vcc_lo, exec_lo, s33
	s_mov_b32 s19, -1
	s_cbranch_vccz .LBB31_46
.LBB31_65:                              ;   in Loop: Header=BB31_43 Depth=2
                                        ; implicit-def: $sgpr23
                                        ; implicit-def: $sgpr0_sgpr1
	s_and_not1_b32 vcc_lo, exec_lo, s19
	s_cbranch_vccz .LBB31_72
.LBB31_66:                              ;   in Loop: Header=BB31_43 Depth=2
	s_mov_b32 s19, s34
	s_branch .LBB31_43
.LBB31_67:                              ;   in Loop: Header=BB31_43 Depth=2
	s_branch .LBB31_51
.LBB31_68:                              ;   in Loop: Header=BB31_43 Depth=2
	s_branch .LBB31_55
.LBB31_69:                              ;   in Loop: Header=BB31_43 Depth=2
	s_branch .LBB31_59
.LBB31_70:                              ;   in Loop: Header=BB31_43 Depth=2
	s_branch .LBB31_63
.LBB31_71:                              ;   in Loop: Header=BB31_10 Depth=1
	s_mov_b32 s34, s19
.LBB31_72:                              ;   in Loop: Header=BB31_10 Depth=1
	s_wait_dscnt 0x0
	s_barrier_signal -1
	s_barrier_wait -1
	ds_load_b32 v28, v26 offset:16384
	s_wait_dscnt 0x0
	v_cmp_eq_u32_e32 vcc_lo, 0, v28
	s_cbranch_vccnz .LBB31_9
; %bb.73:                               ;   in Loop: Header=BB31_10 Depth=1
	v_mul_lo_u32 v29, v25, s3
	s_wait_xcnt 0x0
	s_add_co_i32 s0, s31, s6
	s_delay_alu instid0(SALU_CYCLE_1) | instskip(SKIP_2) | instid1(VALU_DEP_1)
	v_mov_b32_e32 v30, s0
	global_store_b32 v25, v30, s[8:9] scale_offset
	v_add_nc_u32_e32 v28, v29, v1
	v_mul_lo_u32 v28, v28, s3
	s_wait_xcnt 0x0
	s_and_saveexec_b32 s0, s26
	s_cbranch_execnz .LBB31_77
; %bb.74:                               ;   in Loop: Header=BB31_10 Depth=1
	s_or_b32 exec_lo, exec_lo, s0
	s_and_saveexec_b32 s0, s27
	s_cbranch_execnz .LBB31_81
.LBB31_75:                              ;   in Loop: Header=BB31_10 Depth=1
	s_or_b32 exec_lo, exec_lo, s0
	s_and_saveexec_b32 s0, s28
	s_cbranch_execnz .LBB31_85
.LBB31_76:                              ;   in Loop: Header=BB31_10 Depth=1
	s_or_b32 exec_lo, exec_lo, s0
	s_and_saveexec_b32 s0, s29
	s_cbranch_execz .LBB31_8
	s_branch .LBB31_89
.LBB31_77:                              ;   in Loop: Header=BB31_10 Depth=1
	s_and_b32 vcc_lo, exec_lo, s25
	s_cbranch_vccz .LBB31_91
; %bb.78:                               ;   in Loop: Header=BB31_10 Depth=1
	v_add_nc_u32_e32 v30, v29, v0
	s_delay_alu instid0(VALU_DEP_1)
	v_mad_u32 v30, v30, s3, v1
	v_mov_b32_e32 v31, v20
	s_cbranch_execnz .LBB31_80
.LBB31_79:                              ;   in Loop: Header=BB31_10 Depth=1
	s_delay_alu instid0(VALU_DEP_2)
	v_dual_mov_b32 v31, v15 :: v_dual_add_nc_u32 v30, v28, v0
.LBB31_80:                              ;   in Loop: Header=BB31_10 Depth=1
	ds_load_2addr_b64 v[32:35], v31 offset1:1
	s_wait_dscnt 0x0
	global_store_b128 v30, v[32:35], s[10:11] scale_offset
	s_wait_xcnt 0x0
	s_or_b32 exec_lo, exec_lo, s0
	s_and_saveexec_b32 s0, s27
	s_cbranch_execz .LBB31_75
.LBB31_81:                              ;   in Loop: Header=BB31_10 Depth=1
	s_and_not1_b32 vcc_lo, exec_lo, s25
	s_cbranch_vccnz .LBB31_92
; %bb.82:                               ;   in Loop: Header=BB31_10 Depth=1
	v_add_nc_u32_e32 v30, v29, v14
	s_delay_alu instid0(VALU_DEP_1)
	v_mad_u32 v30, v30, s3, v1
	v_mov_b32_e32 v31, v22
	s_cbranch_execnz .LBB31_84
.LBB31_83:                              ;   in Loop: Header=BB31_10 Depth=1
	v_dual_mov_b32 v31, v17 :: v_dual_add_nc_u32 v30, v28, v14
.LBB31_84:                              ;   in Loop: Header=BB31_10 Depth=1
	ds_load_2addr_b64 v[32:35], v31 offset1:1
	s_wait_dscnt 0x0
	global_store_b128 v30, v[32:35], s[10:11] scale_offset
	s_wait_xcnt 0x0
	s_or_b32 exec_lo, exec_lo, s0
	s_and_saveexec_b32 s0, s28
	s_cbranch_execz .LBB31_76
.LBB31_85:                              ;   in Loop: Header=BB31_10 Depth=1
	s_and_not1_b32 vcc_lo, exec_lo, s25
	s_cbranch_vccnz .LBB31_93
; %bb.86:                               ;   in Loop: Header=BB31_10 Depth=1
	v_add_nc_u32_e32 v30, v29, v16
	s_delay_alu instid0(VALU_DEP_1)
	v_mad_u32 v30, v30, s3, v1
	v_mov_b32_e32 v31, v23
	s_cbranch_execnz .LBB31_88
.LBB31_87:                              ;   in Loop: Header=BB31_10 Depth=1
	v_dual_mov_b32 v31, v18 :: v_dual_add_nc_u32 v30, v28, v16
.LBB31_88:                              ;   in Loop: Header=BB31_10 Depth=1
	ds_load_2addr_b64 v[32:35], v31 offset1:1
	s_wait_dscnt 0x0
	global_store_b128 v30, v[32:35], s[10:11] scale_offset
	s_wait_xcnt 0x0
	s_or_b32 exec_lo, exec_lo, s0
	s_and_saveexec_b32 s0, s29
	s_cbranch_execz .LBB31_8
.LBB31_89:                              ;   in Loop: Header=BB31_10 Depth=1
	s_and_not1_b32 vcc_lo, exec_lo, s25
	s_cbranch_vccnz .LBB31_94
; %bb.90:                               ;   in Loop: Header=BB31_10 Depth=1
	v_add_nc_u32_e32 v29, v29, v21
	s_delay_alu instid0(VALU_DEP_1)
	v_mad_u32 v29, v29, s3, v1
	v_mov_b32_e32 v30, v24
	s_cbranch_execnz .LBB31_7
	s_branch .LBB31_95
.LBB31_91:                              ;   in Loop: Header=BB31_10 Depth=1
                                        ; implicit-def: $vgpr30
	v_mov_b32_e32 v31, v20
	s_branch .LBB31_79
.LBB31_92:                              ;   in Loop: Header=BB31_10 Depth=1
                                        ; implicit-def: $vgpr30
	v_mov_b32_e32 v31, v22
	s_branch .LBB31_83
.LBB31_93:                              ;   in Loop: Header=BB31_10 Depth=1
                                        ; implicit-def: $vgpr30
	v_mov_b32_e32 v31, v23
	s_branch .LBB31_87
.LBB31_94:                              ;   in Loop: Header=BB31_10 Depth=1
                                        ; implicit-def: $vgpr29
	v_mov_b32_e32 v30, v24
.LBB31_95:                              ;   in Loop: Header=BB31_10 Depth=1
	v_dual_mov_b32 v30, v19 :: v_dual_add_nc_u32 v29, v28, v21
	s_branch .LBB31_7
.LBB31_96:
	s_endpgm
	.section	.rodata,"a",@progbits
	.p2align	6, 0x0
	.amdhsa_kernel _ZN9rocsparseL39bsrgeam_block_per_row_multipass_kernel2ILj256ELj32E21rocsparse_complex_numIdEEEv20rocsparse_direction_iiiNS_24const_host_device_scalarIT1_EEPKiS8_PKS5_S6_S8_S8_SA_S8_PiPS5_21rocsparse_index_base_SD_SD_b
		.amdhsa_group_segment_fixed_size 16392
		.amdhsa_private_segment_fixed_size 16
		.amdhsa_kernarg_size 136
		.amdhsa_user_sgpr_count 2
		.amdhsa_user_sgpr_dispatch_ptr 0
		.amdhsa_user_sgpr_queue_ptr 0
		.amdhsa_user_sgpr_kernarg_segment_ptr 1
		.amdhsa_user_sgpr_dispatch_id 0
		.amdhsa_user_sgpr_kernarg_preload_length 0
		.amdhsa_user_sgpr_kernarg_preload_offset 0
		.amdhsa_user_sgpr_private_segment_size 0
		.amdhsa_wavefront_size32 1
		.amdhsa_uses_dynamic_stack 0
		.amdhsa_enable_private_segment 1
		.amdhsa_system_sgpr_workgroup_id_x 1
		.amdhsa_system_sgpr_workgroup_id_y 0
		.amdhsa_system_sgpr_workgroup_id_z 0
		.amdhsa_system_sgpr_workgroup_info 0
		.amdhsa_system_vgpr_workitem_id 0
		.amdhsa_next_free_vgpr 42
		.amdhsa_next_free_sgpr 40
		.amdhsa_named_barrier_count 0
		.amdhsa_reserve_vcc 1
		.amdhsa_float_round_mode_32 0
		.amdhsa_float_round_mode_16_64 0
		.amdhsa_float_denorm_mode_32 3
		.amdhsa_float_denorm_mode_16_64 3
		.amdhsa_fp16_overflow 0
		.amdhsa_memory_ordered 1
		.amdhsa_forward_progress 1
		.amdhsa_inst_pref_size 24
		.amdhsa_round_robin_scheduling 0
		.amdhsa_exception_fp_ieee_invalid_op 0
		.amdhsa_exception_fp_denorm_src 0
		.amdhsa_exception_fp_ieee_div_zero 0
		.amdhsa_exception_fp_ieee_overflow 0
		.amdhsa_exception_fp_ieee_underflow 0
		.amdhsa_exception_fp_ieee_inexact 0
		.amdhsa_exception_int_div_zero 0
	.end_amdhsa_kernel
	.section	.text._ZN9rocsparseL39bsrgeam_block_per_row_multipass_kernel2ILj256ELj32E21rocsparse_complex_numIdEEEv20rocsparse_direction_iiiNS_24const_host_device_scalarIT1_EEPKiS8_PKS5_S6_S8_S8_SA_S8_PiPS5_21rocsparse_index_base_SD_SD_b,"axG",@progbits,_ZN9rocsparseL39bsrgeam_block_per_row_multipass_kernel2ILj256ELj32E21rocsparse_complex_numIdEEEv20rocsparse_direction_iiiNS_24const_host_device_scalarIT1_EEPKiS8_PKS5_S6_S8_S8_SA_S8_PiPS5_21rocsparse_index_base_SD_SD_b,comdat
.Lfunc_end31:
	.size	_ZN9rocsparseL39bsrgeam_block_per_row_multipass_kernel2ILj256ELj32E21rocsparse_complex_numIdEEEv20rocsparse_direction_iiiNS_24const_host_device_scalarIT1_EEPKiS8_PKS5_S6_S8_S8_SA_S8_PiPS5_21rocsparse_index_base_SD_SD_b, .Lfunc_end31-_ZN9rocsparseL39bsrgeam_block_per_row_multipass_kernel2ILj256ELj32E21rocsparse_complex_numIdEEEv20rocsparse_direction_iiiNS_24const_host_device_scalarIT1_EEPKiS8_PKS5_S6_S8_S8_SA_S8_PiPS5_21rocsparse_index_base_SD_SD_b
                                        ; -- End function
	.set _ZN9rocsparseL39bsrgeam_block_per_row_multipass_kernel2ILj256ELj32E21rocsparse_complex_numIdEEEv20rocsparse_direction_iiiNS_24const_host_device_scalarIT1_EEPKiS8_PKS5_S6_S8_S8_SA_S8_PiPS5_21rocsparse_index_base_SD_SD_b.num_vgpr, 42
	.set _ZN9rocsparseL39bsrgeam_block_per_row_multipass_kernel2ILj256ELj32E21rocsparse_complex_numIdEEEv20rocsparse_direction_iiiNS_24const_host_device_scalarIT1_EEPKiS8_PKS5_S6_S8_S8_SA_S8_PiPS5_21rocsparse_index_base_SD_SD_b.num_agpr, 0
	.set _ZN9rocsparseL39bsrgeam_block_per_row_multipass_kernel2ILj256ELj32E21rocsparse_complex_numIdEEEv20rocsparse_direction_iiiNS_24const_host_device_scalarIT1_EEPKiS8_PKS5_S6_S8_S8_SA_S8_PiPS5_21rocsparse_index_base_SD_SD_b.numbered_sgpr, 40
	.set _ZN9rocsparseL39bsrgeam_block_per_row_multipass_kernel2ILj256ELj32E21rocsparse_complex_numIdEEEv20rocsparse_direction_iiiNS_24const_host_device_scalarIT1_EEPKiS8_PKS5_S6_S8_S8_SA_S8_PiPS5_21rocsparse_index_base_SD_SD_b.num_named_barrier, 0
	.set _ZN9rocsparseL39bsrgeam_block_per_row_multipass_kernel2ILj256ELj32E21rocsparse_complex_numIdEEEv20rocsparse_direction_iiiNS_24const_host_device_scalarIT1_EEPKiS8_PKS5_S6_S8_S8_SA_S8_PiPS5_21rocsparse_index_base_SD_SD_b.private_seg_size, 16
	.set _ZN9rocsparseL39bsrgeam_block_per_row_multipass_kernel2ILj256ELj32E21rocsparse_complex_numIdEEEv20rocsparse_direction_iiiNS_24const_host_device_scalarIT1_EEPKiS8_PKS5_S6_S8_S8_SA_S8_PiPS5_21rocsparse_index_base_SD_SD_b.uses_vcc, 1
	.set _ZN9rocsparseL39bsrgeam_block_per_row_multipass_kernel2ILj256ELj32E21rocsparse_complex_numIdEEEv20rocsparse_direction_iiiNS_24const_host_device_scalarIT1_EEPKiS8_PKS5_S6_S8_S8_SA_S8_PiPS5_21rocsparse_index_base_SD_SD_b.uses_flat_scratch, 0
	.set _ZN9rocsparseL39bsrgeam_block_per_row_multipass_kernel2ILj256ELj32E21rocsparse_complex_numIdEEEv20rocsparse_direction_iiiNS_24const_host_device_scalarIT1_EEPKiS8_PKS5_S6_S8_S8_SA_S8_PiPS5_21rocsparse_index_base_SD_SD_b.has_dyn_sized_stack, 0
	.set _ZN9rocsparseL39bsrgeam_block_per_row_multipass_kernel2ILj256ELj32E21rocsparse_complex_numIdEEEv20rocsparse_direction_iiiNS_24const_host_device_scalarIT1_EEPKiS8_PKS5_S6_S8_S8_SA_S8_PiPS5_21rocsparse_index_base_SD_SD_b.has_recursion, 0
	.set _ZN9rocsparseL39bsrgeam_block_per_row_multipass_kernel2ILj256ELj32E21rocsparse_complex_numIdEEEv20rocsparse_direction_iiiNS_24const_host_device_scalarIT1_EEPKiS8_PKS5_S6_S8_S8_SA_S8_PiPS5_21rocsparse_index_base_SD_SD_b.has_indirect_call, 0
	.section	.AMDGPU.csdata,"",@progbits
; Kernel info:
; codeLenInByte = 3028
; TotalNumSgprs: 42
; NumVgprs: 42
; ScratchSize: 16
; MemoryBound: 0
; FloatMode: 240
; IeeeMode: 1
; LDSByteSize: 16392 bytes/workgroup (compile time only)
; SGPRBlocks: 0
; VGPRBlocks: 2
; NumSGPRsForWavesPerEU: 42
; NumVGPRsForWavesPerEU: 42
; NamedBarCnt: 0
; Occupancy: 16
; WaveLimiterHint : 1
; COMPUTE_PGM_RSRC2:SCRATCH_EN: 1
; COMPUTE_PGM_RSRC2:USER_SGPR: 2
; COMPUTE_PGM_RSRC2:TRAP_HANDLER: 0
; COMPUTE_PGM_RSRC2:TGID_X_EN: 1
; COMPUTE_PGM_RSRC2:TGID_Y_EN: 0
; COMPUTE_PGM_RSRC2:TGID_Z_EN: 0
; COMPUTE_PGM_RSRC2:TIDIG_COMP_CNT: 0
	.section	.AMDGPU.gpr_maximums,"",@progbits
	.set amdgpu.max_num_vgpr, 0
	.set amdgpu.max_num_agpr, 0
	.set amdgpu.max_num_sgpr, 0
	.section	.AMDGPU.csdata,"",@progbits
	.type	__hip_cuid_a00c436085233519,@object ; @__hip_cuid_a00c436085233519
	.section	.bss,"aw",@nobits
	.globl	__hip_cuid_a00c436085233519
__hip_cuid_a00c436085233519:
	.byte	0                               ; 0x0
	.size	__hip_cuid_a00c436085233519, 1

	.ident	"AMD clang version 22.0.0git (https://github.com/RadeonOpenCompute/llvm-project roc-7.2.4 26084 f58b06dce1f9c15707c5f808fd002e18c2accf7e)"
	.section	".note.GNU-stack","",@progbits
	.addrsig
	.addrsig_sym __hip_cuid_a00c436085233519
	.amdgpu_metadata
---
amdhsa.kernels:
  - .args:
      - .offset:         0
        .size:           4
        .value_kind:     by_value
      - .offset:         4
        .size:           4
        .value_kind:     by_value
      - .offset:         8
        .size:           4
        .value_kind:     by_value
      - .offset:         12
        .size:           4
        .value_kind:     by_value
      - .offset:         16
        .size:           8
        .value_kind:     by_value
      - .actual_access:  read_only
        .address_space:  global
        .offset:         24
        .size:           8
        .value_kind:     global_buffer
      - .actual_access:  read_only
        .address_space:  global
        .offset:         32
        .size:           8
        .value_kind:     global_buffer
      - .actual_access:  read_only
        .address_space:  global
        .offset:         40
        .size:           8
        .value_kind:     global_buffer
      - .offset:         48
        .size:           8
        .value_kind:     by_value
      - .actual_access:  read_only
        .address_space:  global
        .offset:         56
        .size:           8
        .value_kind:     global_buffer
      - .actual_access:  read_only
        .address_space:  global
        .offset:         64
        .size:           8
        .value_kind:     global_buffer
      - .actual_access:  read_only
        .address_space:  global
        .offset:         72
        .size:           8
        .value_kind:     global_buffer
      - .actual_access:  read_only
        .address_space:  global
        .offset:         80
        .size:           8
        .value_kind:     global_buffer
      - .actual_access:  write_only
        .address_space:  global
        .offset:         88
        .size:           8
        .value_kind:     global_buffer
      - .actual_access:  write_only
        .address_space:  global
        .offset:         96
        .size:           8
        .value_kind:     global_buffer
      - .offset:         104
        .size:           4
        .value_kind:     by_value
      - .offset:         108
        .size:           4
        .value_kind:     by_value
      - .offset:         112
        .size:           4
        .value_kind:     by_value
      - .offset:         116
        .size:           1
        .value_kind:     by_value
    .group_segment_fixed_size: 4352
    .kernarg_segment_align: 8
    .kernarg_segment_size: 120
    .language:       OpenCL C
    .language_version:
      - 2
      - 0
    .max_flat_workgroup_size: 256
    .name:           _ZN9rocsparseL39bsrgeam_wf_per_row_multipass_2_3_kernelILj256ELj2ELj32EfEEv20rocsparse_direction_iiiNS_24const_host_device_scalarIT2_EEPKiS6_PKS3_S4_S6_S6_S8_S6_PiPS3_21rocsparse_index_base_SB_SB_b
    .private_segment_fixed_size: 0
    .sgpr_count:     30
    .sgpr_spill_count: 0
    .symbol:         _ZN9rocsparseL39bsrgeam_wf_per_row_multipass_2_3_kernelILj256ELj2ELj32EfEEv20rocsparse_direction_iiiNS_24const_host_device_scalarIT2_EEPKiS6_PKS3_S4_S6_S6_S8_S6_PiPS3_21rocsparse_index_base_SB_SB_b.kd
    .uniform_work_group_size: 1
    .uses_dynamic_stack: false
    .vgpr_count:     40
    .vgpr_spill_count: 0
    .wavefront_size: 32
  - .args:
      - .offset:         0
        .size:           4
        .value_kind:     by_value
      - .offset:         4
        .size:           4
        .value_kind:     by_value
      - .offset:         8
        .size:           4
        .value_kind:     by_value
      - .offset:         12
        .size:           4
        .value_kind:     by_value
      - .offset:         16
        .size:           8
        .value_kind:     by_value
      - .actual_access:  read_only
        .address_space:  global
        .offset:         24
        .size:           8
        .value_kind:     global_buffer
      - .actual_access:  read_only
        .address_space:  global
        .offset:         32
        .size:           8
        .value_kind:     global_buffer
      - .actual_access:  read_only
        .address_space:  global
        .offset:         40
        .size:           8
        .value_kind:     global_buffer
      - .offset:         48
        .size:           8
        .value_kind:     by_value
      - .actual_access:  read_only
        .address_space:  global
        .offset:         56
        .size:           8
        .value_kind:     global_buffer
      - .actual_access:  read_only
        .address_space:  global
        .offset:         64
        .size:           8
        .value_kind:     global_buffer
      - .actual_access:  read_only
        .address_space:  global
        .offset:         72
        .size:           8
        .value_kind:     global_buffer
      - .actual_access:  read_only
        .address_space:  global
        .offset:         80
        .size:           8
        .value_kind:     global_buffer
      - .actual_access:  write_only
        .address_space:  global
        .offset:         88
        .size:           8
        .value_kind:     global_buffer
      - .actual_access:  write_only
        .address_space:  global
        .offset:         96
        .size:           8
        .value_kind:     global_buffer
      - .offset:         104
        .size:           4
        .value_kind:     by_value
      - .offset:         108
        .size:           4
        .value_kind:     by_value
      - .offset:         112
        .size:           4
        .value_kind:     by_value
      - .offset:         116
        .size:           1
        .value_kind:     by_value
    .group_segment_fixed_size: 4352
    .kernarg_segment_align: 8
    .kernarg_segment_size: 120
    .language:       OpenCL C
    .language_version:
      - 2
      - 0
    .max_flat_workgroup_size: 256
    .name:           _ZN9rocsparseL39bsrgeam_wf_per_row_multipass_2_3_kernelILj256ELj2ELj64EfEEv20rocsparse_direction_iiiNS_24const_host_device_scalarIT2_EEPKiS6_PKS3_S4_S6_S6_S8_S6_PiPS3_21rocsparse_index_base_SB_SB_b
    .private_segment_fixed_size: 0
    .sgpr_count:     30
    .sgpr_spill_count: 0
    .symbol:         _ZN9rocsparseL39bsrgeam_wf_per_row_multipass_2_3_kernelILj256ELj2ELj64EfEEv20rocsparse_direction_iiiNS_24const_host_device_scalarIT2_EEPKiS6_PKS3_S4_S6_S6_S8_S6_PiPS3_21rocsparse_index_base_SB_SB_b.kd
    .uniform_work_group_size: 1
    .uses_dynamic_stack: false
    .vgpr_count:     42
    .vgpr_spill_count: 0
    .wavefront_size: 32
  - .args:
      - .offset:         0
        .size:           4
        .value_kind:     by_value
      - .offset:         4
        .size:           4
        .value_kind:     by_value
      - .offset:         8
        .size:           4
        .value_kind:     by_value
      - .offset:         12
        .size:           4
        .value_kind:     by_value
      - .offset:         16
        .size:           8
        .value_kind:     by_value
      - .actual_access:  read_only
        .address_space:  global
        .offset:         24
        .size:           8
        .value_kind:     global_buffer
      - .actual_access:  read_only
        .address_space:  global
        .offset:         32
        .size:           8
        .value_kind:     global_buffer
      - .actual_access:  read_only
        .address_space:  global
        .offset:         40
        .size:           8
        .value_kind:     global_buffer
      - .offset:         48
        .size:           8
        .value_kind:     by_value
      - .actual_access:  read_only
        .address_space:  global
        .offset:         56
        .size:           8
        .value_kind:     global_buffer
      - .actual_access:  read_only
        .address_space:  global
        .offset:         64
        .size:           8
        .value_kind:     global_buffer
      - .actual_access:  read_only
        .address_space:  global
        .offset:         72
        .size:           8
        .value_kind:     global_buffer
      - .actual_access:  read_only
        .address_space:  global
        .offset:         80
        .size:           8
        .value_kind:     global_buffer
      - .actual_access:  write_only
        .address_space:  global
        .offset:         88
        .size:           8
        .value_kind:     global_buffer
      - .actual_access:  write_only
        .address_space:  global
        .offset:         96
        .size:           8
        .value_kind:     global_buffer
      - .offset:         104
        .size:           4
        .value_kind:     by_value
      - .offset:         108
        .size:           4
        .value_kind:     by_value
      - .offset:         112
        .size:           4
        .value_kind:     by_value
      - .offset:         116
        .size:           1
        .value_kind:     by_value
    .group_segment_fixed_size: 9472
    .kernarg_segment_align: 8
    .kernarg_segment_size: 120
    .language:       OpenCL C
    .language_version:
      - 2
      - 0
    .max_flat_workgroup_size: 256
    .name:           _ZN9rocsparseL39bsrgeam_wf_per_row_multipass_2_3_kernelILj256ELj3ELj32EfEEv20rocsparse_direction_iiiNS_24const_host_device_scalarIT2_EEPKiS6_PKS3_S4_S6_S6_S8_S6_PiPS3_21rocsparse_index_base_SB_SB_b
    .private_segment_fixed_size: 0
    .sgpr_count:     34
    .sgpr_spill_count: 0
    .symbol:         _ZN9rocsparseL39bsrgeam_wf_per_row_multipass_2_3_kernelILj256ELj3ELj32EfEEv20rocsparse_direction_iiiNS_24const_host_device_scalarIT2_EEPKiS6_PKS3_S4_S6_S6_S8_S6_PiPS3_21rocsparse_index_base_SB_SB_b.kd
    .uniform_work_group_size: 1
    .uses_dynamic_stack: false
    .vgpr_count:     50
    .vgpr_spill_count: 0
    .wavefront_size: 32
  - .args:
      - .offset:         0
        .size:           4
        .value_kind:     by_value
      - .offset:         4
        .size:           4
        .value_kind:     by_value
      - .offset:         8
        .size:           4
        .value_kind:     by_value
      - .offset:         12
        .size:           4
        .value_kind:     by_value
      - .offset:         16
        .size:           8
        .value_kind:     by_value
      - .actual_access:  read_only
        .address_space:  global
        .offset:         24
        .size:           8
        .value_kind:     global_buffer
      - .actual_access:  read_only
        .address_space:  global
        .offset:         32
        .size:           8
        .value_kind:     global_buffer
      - .actual_access:  read_only
        .address_space:  global
        .offset:         40
        .size:           8
        .value_kind:     global_buffer
      - .offset:         48
        .size:           8
        .value_kind:     by_value
      - .actual_access:  read_only
        .address_space:  global
        .offset:         56
        .size:           8
        .value_kind:     global_buffer
      - .actual_access:  read_only
        .address_space:  global
        .offset:         64
        .size:           8
        .value_kind:     global_buffer
      - .actual_access:  read_only
        .address_space:  global
        .offset:         72
        .size:           8
        .value_kind:     global_buffer
      - .actual_access:  read_only
        .address_space:  global
        .offset:         80
        .size:           8
        .value_kind:     global_buffer
      - .actual_access:  write_only
        .address_space:  global
        .offset:         88
        .size:           8
        .value_kind:     global_buffer
      - .actual_access:  write_only
        .address_space:  global
        .offset:         96
        .size:           8
        .value_kind:     global_buffer
      - .offset:         104
        .size:           4
        .value_kind:     by_value
      - .offset:         108
        .size:           4
        .value_kind:     by_value
      - .offset:         112
        .size:           4
        .value_kind:     by_value
      - .offset:         116
        .size:           1
        .value_kind:     by_value
    .group_segment_fixed_size: 9472
    .kernarg_segment_align: 8
    .kernarg_segment_size: 120
    .language:       OpenCL C
    .language_version:
      - 2
      - 0
    .max_flat_workgroup_size: 256
    .name:           _ZN9rocsparseL39bsrgeam_wf_per_row_multipass_2_3_kernelILj256ELj3ELj64EfEEv20rocsparse_direction_iiiNS_24const_host_device_scalarIT2_EEPKiS6_PKS3_S4_S6_S6_S8_S6_PiPS3_21rocsparse_index_base_SB_SB_b
    .private_segment_fixed_size: 0
    .sgpr_count:     34
    .sgpr_spill_count: 0
    .symbol:         _ZN9rocsparseL39bsrgeam_wf_per_row_multipass_2_3_kernelILj256ELj3ELj64EfEEv20rocsparse_direction_iiiNS_24const_host_device_scalarIT2_EEPKiS6_PKS3_S4_S6_S6_S8_S6_PiPS3_21rocsparse_index_base_SB_SB_b.kd
    .uniform_work_group_size: 1
    .uses_dynamic_stack: false
    .vgpr_count:     52
    .vgpr_spill_count: 0
    .wavefront_size: 32
  - .args:
      - .offset:         0
        .size:           4
        .value_kind:     by_value
      - .offset:         4
        .size:           4
        .value_kind:     by_value
      - .offset:         8
        .size:           4
        .value_kind:     by_value
      - .offset:         12
        .size:           4
        .value_kind:     by_value
      - .offset:         16
        .size:           8
        .value_kind:     by_value
      - .actual_access:  read_only
        .address_space:  global
        .offset:         24
        .size:           8
        .value_kind:     global_buffer
      - .actual_access:  read_only
        .address_space:  global
        .offset:         32
        .size:           8
        .value_kind:     global_buffer
      - .actual_access:  read_only
        .address_space:  global
        .offset:         40
        .size:           8
        .value_kind:     global_buffer
      - .offset:         48
        .size:           8
        .value_kind:     by_value
      - .actual_access:  read_only
        .address_space:  global
        .offset:         56
        .size:           8
        .value_kind:     global_buffer
      - .actual_access:  read_only
        .address_space:  global
        .offset:         64
        .size:           8
        .value_kind:     global_buffer
      - .actual_access:  read_only
        .address_space:  global
        .offset:         72
        .size:           8
        .value_kind:     global_buffer
      - .actual_access:  read_only
        .address_space:  global
        .offset:         80
        .size:           8
        .value_kind:     global_buffer
      - .actual_access:  write_only
        .address_space:  global
        .offset:         88
        .size:           8
        .value_kind:     global_buffer
      - .actual_access:  write_only
        .address_space:  global
        .offset:         96
        .size:           8
        .value_kind:     global_buffer
      - .offset:         104
        .size:           4
        .value_kind:     by_value
      - .offset:         108
        .size:           4
        .value_kind:     by_value
      - .offset:         112
        .size:           4
        .value_kind:     by_value
      - .offset:         116
        .size:           1
        .value_kind:     by_value
    .group_segment_fixed_size: 288
    .kernarg_segment_align: 8
    .kernarg_segment_size: 120
    .language:       OpenCL C
    .language_version:
      - 2
      - 0
    .max_flat_workgroup_size: 64
    .name:           _ZN9rocsparseL35bsrgeam_wf_per_row_multipass_kernelILj64ELj4EfEEv20rocsparse_direction_iiiNS_24const_host_device_scalarIT1_EEPKiS6_PKS3_S4_S6_S6_S8_S6_PiPS3_21rocsparse_index_base_SB_SB_b
    .private_segment_fixed_size: 0
    .sgpr_count:     32
    .sgpr_spill_count: 0
    .symbol:         _ZN9rocsparseL35bsrgeam_wf_per_row_multipass_kernelILj64ELj4EfEEv20rocsparse_direction_iiiNS_24const_host_device_scalarIT1_EEPKiS6_PKS3_S4_S6_S6_S8_S6_PiPS3_21rocsparse_index_base_SB_SB_b.kd
    .uniform_work_group_size: 1
    .uses_dynamic_stack: false
    .vgpr_count:     27
    .vgpr_spill_count: 0
    .wavefront_size: 32
  - .args:
      - .offset:         0
        .size:           4
        .value_kind:     by_value
      - .offset:         4
        .size:           4
        .value_kind:     by_value
      - .offset:         8
        .size:           4
        .value_kind:     by_value
      - .offset:         12
        .size:           4
        .value_kind:     by_value
      - .offset:         16
        .size:           8
        .value_kind:     by_value
      - .actual_access:  read_only
        .address_space:  global
        .offset:         24
        .size:           8
        .value_kind:     global_buffer
      - .actual_access:  read_only
        .address_space:  global
        .offset:         32
        .size:           8
        .value_kind:     global_buffer
      - .actual_access:  read_only
        .address_space:  global
        .offset:         40
        .size:           8
        .value_kind:     global_buffer
      - .offset:         48
        .size:           8
        .value_kind:     by_value
      - .actual_access:  read_only
        .address_space:  global
        .offset:         56
        .size:           8
        .value_kind:     global_buffer
      - .actual_access:  read_only
        .address_space:  global
        .offset:         64
        .size:           8
        .value_kind:     global_buffer
      - .actual_access:  read_only
        .address_space:  global
        .offset:         72
        .size:           8
        .value_kind:     global_buffer
      - .actual_access:  read_only
        .address_space:  global
        .offset:         80
        .size:           8
        .value_kind:     global_buffer
      - .actual_access:  write_only
        .address_space:  global
        .offset:         88
        .size:           8
        .value_kind:     global_buffer
      - .actual_access:  write_only
        .address_space:  global
        .offset:         96
        .size:           8
        .value_kind:     global_buffer
      - .offset:         104
        .size:           4
        .value_kind:     by_value
      - .offset:         108
        .size:           4
        .value_kind:     by_value
      - .offset:         112
        .size:           4
        .value_kind:     by_value
      - .offset:         116
        .size:           1
        .value_kind:     by_value
    .group_segment_fixed_size: 264
    .kernarg_segment_align: 8
    .kernarg_segment_size: 120
    .language:       OpenCL C
    .language_version:
      - 2
      - 0
    .max_flat_workgroup_size: 64
    .name:           _ZN9rocsparseL35bsrgeam_wf_per_row_multipass_kernelILj64ELj8EfEEv20rocsparse_direction_iiiNS_24const_host_device_scalarIT1_EEPKiS6_PKS3_S4_S6_S6_S8_S6_PiPS3_21rocsparse_index_base_SB_SB_b
    .private_segment_fixed_size: 0
    .sgpr_count:     30
    .sgpr_spill_count: 0
    .symbol:         _ZN9rocsparseL35bsrgeam_wf_per_row_multipass_kernelILj64ELj8EfEEv20rocsparse_direction_iiiNS_24const_host_device_scalarIT1_EEPKiS6_PKS3_S4_S6_S6_S8_S6_PiPS3_21rocsparse_index_base_SB_SB_b.kd
    .uniform_work_group_size: 1
    .uses_dynamic_stack: false
    .vgpr_count:     26
    .vgpr_spill_count: 0
    .wavefront_size: 32
  - .args:
      - .offset:         0
        .size:           4
        .value_kind:     by_value
      - .offset:         4
        .size:           4
        .value_kind:     by_value
      - .offset:         8
        .size:           4
        .value_kind:     by_value
      - .offset:         12
        .size:           4
        .value_kind:     by_value
      - .offset:         16
        .size:           8
        .value_kind:     by_value
      - .actual_access:  read_only
        .address_space:  global
        .offset:         24
        .size:           8
        .value_kind:     global_buffer
      - .actual_access:  read_only
        .address_space:  global
        .offset:         32
        .size:           8
        .value_kind:     global_buffer
      - .actual_access:  read_only
        .address_space:  global
        .offset:         40
        .size:           8
        .value_kind:     global_buffer
      - .offset:         48
        .size:           8
        .value_kind:     by_value
      - .actual_access:  read_only
        .address_space:  global
        .offset:         56
        .size:           8
        .value_kind:     global_buffer
      - .actual_access:  read_only
        .address_space:  global
        .offset:         64
        .size:           8
        .value_kind:     global_buffer
      - .actual_access:  read_only
        .address_space:  global
        .offset:         72
        .size:           8
        .value_kind:     global_buffer
      - .actual_access:  read_only
        .address_space:  global
        .offset:         80
        .size:           8
        .value_kind:     global_buffer
      - .actual_access:  write_only
        .address_space:  global
        .offset:         88
        .size:           8
        .value_kind:     global_buffer
      - .actual_access:  write_only
        .address_space:  global
        .offset:         96
        .size:           8
        .value_kind:     global_buffer
      - .offset:         104
        .size:           4
        .value_kind:     by_value
      - .offset:         108
        .size:           4
        .value_kind:     by_value
      - .offset:         112
        .size:           4
        .value_kind:     by_value
      - .offset:         116
        .size:           1
        .value_kind:     by_value
    .group_segment_fixed_size: 1028
    .kernarg_segment_align: 8
    .kernarg_segment_size: 120
    .language:       OpenCL C
    .language_version:
      - 2
      - 0
    .max_flat_workgroup_size: 256
    .name:           _ZN9rocsparseL39bsrgeam_block_per_row_multipass_kernel2ILj256ELj16EfEEv20rocsparse_direction_iiiNS_24const_host_device_scalarIT1_EEPKiS6_PKS3_S4_S6_S6_S8_S6_PiPS3_21rocsparse_index_base_SB_SB_b
    .private_segment_fixed_size: 0
    .sgpr_count:     38
    .sgpr_spill_count: 0
    .symbol:         _ZN9rocsparseL39bsrgeam_block_per_row_multipass_kernel2ILj256ELj16EfEEv20rocsparse_direction_iiiNS_24const_host_device_scalarIT1_EEPKiS6_PKS3_S4_S6_S6_S8_S6_PiPS3_21rocsparse_index_base_SB_SB_b.kd
    .uniform_work_group_size: 1
    .uses_dynamic_stack: false
    .vgpr_count:     11
    .vgpr_spill_count: 0
    .wavefront_size: 32
  - .args:
      - .offset:         0
        .size:           4
        .value_kind:     by_value
      - .offset:         4
        .size:           4
        .value_kind:     by_value
      - .offset:         8
        .size:           4
        .value_kind:     by_value
      - .offset:         12
        .size:           4
        .value_kind:     by_value
      - .offset:         16
        .size:           8
        .value_kind:     by_value
      - .actual_access:  read_only
        .address_space:  global
        .offset:         24
        .size:           8
        .value_kind:     global_buffer
      - .actual_access:  read_only
        .address_space:  global
        .offset:         32
        .size:           8
        .value_kind:     global_buffer
      - .actual_access:  read_only
        .address_space:  global
        .offset:         40
        .size:           8
        .value_kind:     global_buffer
      - .offset:         48
        .size:           8
        .value_kind:     by_value
      - .actual_access:  read_only
        .address_space:  global
        .offset:         56
        .size:           8
        .value_kind:     global_buffer
      - .actual_access:  read_only
        .address_space:  global
        .offset:         64
        .size:           8
        .value_kind:     global_buffer
      - .actual_access:  read_only
        .address_space:  global
        .offset:         72
        .size:           8
        .value_kind:     global_buffer
      - .actual_access:  read_only
        .address_space:  global
        .offset:         80
        .size:           8
        .value_kind:     global_buffer
      - .actual_access:  write_only
        .address_space:  global
        .offset:         88
        .size:           8
        .value_kind:     global_buffer
      - .actual_access:  write_only
        .address_space:  global
        .offset:         96
        .size:           8
        .value_kind:     global_buffer
      - .offset:         104
        .size:           4
        .value_kind:     by_value
      - .offset:         108
        .size:           4
        .value_kind:     by_value
      - .offset:         112
        .size:           4
        .value_kind:     by_value
      - .offset:         116
        .size:           1
        .value_kind:     by_value
    .group_segment_fixed_size: 4100
    .kernarg_segment_align: 8
    .kernarg_segment_size: 120
    .language:       OpenCL C
    .language_version:
      - 2
      - 0
    .max_flat_workgroup_size: 256
    .name:           _ZN9rocsparseL39bsrgeam_block_per_row_multipass_kernel2ILj256ELj32EfEEv20rocsparse_direction_iiiNS_24const_host_device_scalarIT1_EEPKiS6_PKS3_S4_S6_S6_S8_S6_PiPS3_21rocsparse_index_base_SB_SB_b
    .private_segment_fixed_size: 0
    .sgpr_count:     41
    .sgpr_spill_count: 0
    .symbol:         _ZN9rocsparseL39bsrgeam_block_per_row_multipass_kernel2ILj256ELj32EfEEv20rocsparse_direction_iiiNS_24const_host_device_scalarIT1_EEPKiS6_PKS3_S4_S6_S6_S8_S6_PiPS3_21rocsparse_index_base_SB_SB_b.kd
    .uniform_work_group_size: 1
    .uses_dynamic_stack: false
    .vgpr_count:     23
    .vgpr_spill_count: 0
    .wavefront_size: 32
  - .args:
      - .offset:         0
        .size:           4
        .value_kind:     by_value
      - .offset:         4
        .size:           4
        .value_kind:     by_value
      - .offset:         8
        .size:           4
        .value_kind:     by_value
      - .offset:         12
        .size:           4
        .value_kind:     by_value
      - .offset:         16
        .size:           8
        .value_kind:     by_value
      - .actual_access:  read_only
        .address_space:  global
        .offset:         24
        .size:           8
        .value_kind:     global_buffer
      - .actual_access:  read_only
        .address_space:  global
        .offset:         32
        .size:           8
        .value_kind:     global_buffer
      - .actual_access:  read_only
        .address_space:  global
        .offset:         40
        .size:           8
        .value_kind:     global_buffer
      - .offset:         48
        .size:           8
        .value_kind:     by_value
      - .actual_access:  read_only
        .address_space:  global
        .offset:         56
        .size:           8
        .value_kind:     global_buffer
      - .actual_access:  read_only
        .address_space:  global
        .offset:         64
        .size:           8
        .value_kind:     global_buffer
      - .actual_access:  read_only
        .address_space:  global
        .offset:         72
        .size:           8
        .value_kind:     global_buffer
      - .actual_access:  read_only
        .address_space:  global
        .offset:         80
        .size:           8
        .value_kind:     global_buffer
      - .actual_access:  write_only
        .address_space:  global
        .offset:         88
        .size:           8
        .value_kind:     global_buffer
      - .actual_access:  write_only
        .address_space:  global
        .offset:         96
        .size:           8
        .value_kind:     global_buffer
      - .offset:         104
        .size:           4
        .value_kind:     by_value
      - .offset:         108
        .size:           4
        .value_kind:     by_value
      - .offset:         112
        .size:           4
        .value_kind:     by_value
      - .offset:         116
        .size:           1
        .value_kind:     by_value
    .group_segment_fixed_size: 8448
    .kernarg_segment_align: 8
    .kernarg_segment_size: 120
    .language:       OpenCL C
    .language_version:
      - 2
      - 0
    .max_flat_workgroup_size: 256
    .name:           _ZN9rocsparseL39bsrgeam_wf_per_row_multipass_2_3_kernelILj256ELj2ELj32EdEEv20rocsparse_direction_iiiNS_24const_host_device_scalarIT2_EEPKiS6_PKS3_S4_S6_S6_S8_S6_PiPS3_21rocsparse_index_base_SB_SB_b
    .private_segment_fixed_size: 0
    .sgpr_count:     29
    .sgpr_spill_count: 0
    .symbol:         _ZN9rocsparseL39bsrgeam_wf_per_row_multipass_2_3_kernelILj256ELj2ELj32EdEEv20rocsparse_direction_iiiNS_24const_host_device_scalarIT2_EEPKiS6_PKS3_S4_S6_S6_S8_S6_PiPS3_21rocsparse_index_base_SB_SB_b.kd
    .uniform_work_group_size: 1
    .uses_dynamic_stack: false
    .vgpr_count:     44
    .vgpr_spill_count: 0
    .wavefront_size: 32
  - .args:
      - .offset:         0
        .size:           4
        .value_kind:     by_value
      - .offset:         4
        .size:           4
        .value_kind:     by_value
      - .offset:         8
        .size:           4
        .value_kind:     by_value
      - .offset:         12
        .size:           4
        .value_kind:     by_value
      - .offset:         16
        .size:           8
        .value_kind:     by_value
      - .actual_access:  read_only
        .address_space:  global
        .offset:         24
        .size:           8
        .value_kind:     global_buffer
      - .actual_access:  read_only
        .address_space:  global
        .offset:         32
        .size:           8
        .value_kind:     global_buffer
      - .actual_access:  read_only
        .address_space:  global
        .offset:         40
        .size:           8
        .value_kind:     global_buffer
      - .offset:         48
        .size:           8
        .value_kind:     by_value
      - .actual_access:  read_only
        .address_space:  global
        .offset:         56
        .size:           8
        .value_kind:     global_buffer
      - .actual_access:  read_only
        .address_space:  global
        .offset:         64
        .size:           8
        .value_kind:     global_buffer
      - .actual_access:  read_only
        .address_space:  global
        .offset:         72
        .size:           8
        .value_kind:     global_buffer
      - .actual_access:  read_only
        .address_space:  global
        .offset:         80
        .size:           8
        .value_kind:     global_buffer
      - .actual_access:  write_only
        .address_space:  global
        .offset:         88
        .size:           8
        .value_kind:     global_buffer
      - .actual_access:  write_only
        .address_space:  global
        .offset:         96
        .size:           8
        .value_kind:     global_buffer
      - .offset:         104
        .size:           4
        .value_kind:     by_value
      - .offset:         108
        .size:           4
        .value_kind:     by_value
      - .offset:         112
        .size:           4
        .value_kind:     by_value
      - .offset:         116
        .size:           1
        .value_kind:     by_value
    .group_segment_fixed_size: 8448
    .kernarg_segment_align: 8
    .kernarg_segment_size: 120
    .language:       OpenCL C
    .language_version:
      - 2
      - 0
    .max_flat_workgroup_size: 256
    .name:           _ZN9rocsparseL39bsrgeam_wf_per_row_multipass_2_3_kernelILj256ELj2ELj64EdEEv20rocsparse_direction_iiiNS_24const_host_device_scalarIT2_EEPKiS6_PKS3_S4_S6_S6_S8_S6_PiPS3_21rocsparse_index_base_SB_SB_b
    .private_segment_fixed_size: 0
    .sgpr_count:     29
    .sgpr_spill_count: 0
    .symbol:         _ZN9rocsparseL39bsrgeam_wf_per_row_multipass_2_3_kernelILj256ELj2ELj64EdEEv20rocsparse_direction_iiiNS_24const_host_device_scalarIT2_EEPKiS6_PKS3_S4_S6_S6_S8_S6_PiPS3_21rocsparse_index_base_SB_SB_b.kd
    .uniform_work_group_size: 1
    .uses_dynamic_stack: false
    .vgpr_count:     46
    .vgpr_spill_count: 0
    .wavefront_size: 32
  - .args:
      - .offset:         0
        .size:           4
        .value_kind:     by_value
      - .offset:         4
        .size:           4
        .value_kind:     by_value
      - .offset:         8
        .size:           4
        .value_kind:     by_value
      - .offset:         12
        .size:           4
        .value_kind:     by_value
      - .offset:         16
        .size:           8
        .value_kind:     by_value
      - .actual_access:  read_only
        .address_space:  global
        .offset:         24
        .size:           8
        .value_kind:     global_buffer
      - .actual_access:  read_only
        .address_space:  global
        .offset:         32
        .size:           8
        .value_kind:     global_buffer
      - .actual_access:  read_only
        .address_space:  global
        .offset:         40
        .size:           8
        .value_kind:     global_buffer
      - .offset:         48
        .size:           8
        .value_kind:     by_value
      - .actual_access:  read_only
        .address_space:  global
        .offset:         56
        .size:           8
        .value_kind:     global_buffer
      - .actual_access:  read_only
        .address_space:  global
        .offset:         64
        .size:           8
        .value_kind:     global_buffer
      - .actual_access:  read_only
        .address_space:  global
        .offset:         72
        .size:           8
        .value_kind:     global_buffer
      - .actual_access:  read_only
        .address_space:  global
        .offset:         80
        .size:           8
        .value_kind:     global_buffer
      - .actual_access:  write_only
        .address_space:  global
        .offset:         88
        .size:           8
        .value_kind:     global_buffer
      - .actual_access:  write_only
        .address_space:  global
        .offset:         96
        .size:           8
        .value_kind:     global_buffer
      - .offset:         104
        .size:           4
        .value_kind:     by_value
      - .offset:         108
        .size:           4
        .value_kind:     by_value
      - .offset:         112
        .size:           4
        .value_kind:     by_value
      - .offset:         116
        .size:           1
        .value_kind:     by_value
    .group_segment_fixed_size: 18688
    .kernarg_segment_align: 8
    .kernarg_segment_size: 120
    .language:       OpenCL C
    .language_version:
      - 2
      - 0
    .max_flat_workgroup_size: 256
    .name:           _ZN9rocsparseL39bsrgeam_wf_per_row_multipass_2_3_kernelILj256ELj3ELj32EdEEv20rocsparse_direction_iiiNS_24const_host_device_scalarIT2_EEPKiS6_PKS3_S4_S6_S6_S8_S6_PiPS3_21rocsparse_index_base_SB_SB_b
    .private_segment_fixed_size: 0
    .sgpr_count:     30
    .sgpr_spill_count: 0
    .symbol:         _ZN9rocsparseL39bsrgeam_wf_per_row_multipass_2_3_kernelILj256ELj3ELj32EdEEv20rocsparse_direction_iiiNS_24const_host_device_scalarIT2_EEPKiS6_PKS3_S4_S6_S6_S8_S6_PiPS3_21rocsparse_index_base_SB_SB_b.kd
    .uniform_work_group_size: 1
    .uses_dynamic_stack: false
    .vgpr_count:     72
    .vgpr_spill_count: 0
    .wavefront_size: 32
  - .args:
      - .offset:         0
        .size:           4
        .value_kind:     by_value
      - .offset:         4
        .size:           4
        .value_kind:     by_value
      - .offset:         8
        .size:           4
        .value_kind:     by_value
      - .offset:         12
        .size:           4
        .value_kind:     by_value
      - .offset:         16
        .size:           8
        .value_kind:     by_value
      - .actual_access:  read_only
        .address_space:  global
        .offset:         24
        .size:           8
        .value_kind:     global_buffer
      - .actual_access:  read_only
        .address_space:  global
        .offset:         32
        .size:           8
        .value_kind:     global_buffer
      - .actual_access:  read_only
        .address_space:  global
        .offset:         40
        .size:           8
        .value_kind:     global_buffer
      - .offset:         48
        .size:           8
        .value_kind:     by_value
      - .actual_access:  read_only
        .address_space:  global
        .offset:         56
        .size:           8
        .value_kind:     global_buffer
      - .actual_access:  read_only
        .address_space:  global
        .offset:         64
        .size:           8
        .value_kind:     global_buffer
      - .actual_access:  read_only
        .address_space:  global
        .offset:         72
        .size:           8
        .value_kind:     global_buffer
      - .actual_access:  read_only
        .address_space:  global
        .offset:         80
        .size:           8
        .value_kind:     global_buffer
      - .actual_access:  write_only
        .address_space:  global
        .offset:         88
        .size:           8
        .value_kind:     global_buffer
      - .actual_access:  write_only
        .address_space:  global
        .offset:         96
        .size:           8
        .value_kind:     global_buffer
      - .offset:         104
        .size:           4
        .value_kind:     by_value
      - .offset:         108
        .size:           4
        .value_kind:     by_value
      - .offset:         112
        .size:           4
        .value_kind:     by_value
      - .offset:         116
        .size:           1
        .value_kind:     by_value
    .group_segment_fixed_size: 18688
    .kernarg_segment_align: 8
    .kernarg_segment_size: 120
    .language:       OpenCL C
    .language_version:
      - 2
      - 0
    .max_flat_workgroup_size: 256
    .name:           _ZN9rocsparseL39bsrgeam_wf_per_row_multipass_2_3_kernelILj256ELj3ELj64EdEEv20rocsparse_direction_iiiNS_24const_host_device_scalarIT2_EEPKiS6_PKS3_S4_S6_S6_S8_S6_PiPS3_21rocsparse_index_base_SB_SB_b
    .private_segment_fixed_size: 0
    .sgpr_count:     30
    .sgpr_spill_count: 0
    .symbol:         _ZN9rocsparseL39bsrgeam_wf_per_row_multipass_2_3_kernelILj256ELj3ELj64EdEEv20rocsparse_direction_iiiNS_24const_host_device_scalarIT2_EEPKiS6_PKS3_S4_S6_S6_S8_S6_PiPS3_21rocsparse_index_base_SB_SB_b.kd
    .uniform_work_group_size: 1
    .uses_dynamic_stack: false
    .vgpr_count:     74
    .vgpr_spill_count: 0
    .wavefront_size: 32
  - .args:
      - .offset:         0
        .size:           4
        .value_kind:     by_value
      - .offset:         4
        .size:           4
        .value_kind:     by_value
      - .offset:         8
        .size:           4
        .value_kind:     by_value
      - .offset:         12
        .size:           4
        .value_kind:     by_value
      - .offset:         16
        .size:           8
        .value_kind:     by_value
      - .actual_access:  read_only
        .address_space:  global
        .offset:         24
        .size:           8
        .value_kind:     global_buffer
      - .actual_access:  read_only
        .address_space:  global
        .offset:         32
        .size:           8
        .value_kind:     global_buffer
      - .actual_access:  read_only
        .address_space:  global
        .offset:         40
        .size:           8
        .value_kind:     global_buffer
      - .offset:         48
        .size:           8
        .value_kind:     by_value
      - .actual_access:  read_only
        .address_space:  global
        .offset:         56
        .size:           8
        .value_kind:     global_buffer
      - .actual_access:  read_only
        .address_space:  global
        .offset:         64
        .size:           8
        .value_kind:     global_buffer
      - .actual_access:  read_only
        .address_space:  global
        .offset:         72
        .size:           8
        .value_kind:     global_buffer
      - .actual_access:  read_only
        .address_space:  global
        .offset:         80
        .size:           8
        .value_kind:     global_buffer
      - .actual_access:  write_only
        .address_space:  global
        .offset:         88
        .size:           8
        .value_kind:     global_buffer
      - .actual_access:  write_only
        .address_space:  global
        .offset:         96
        .size:           8
        .value_kind:     global_buffer
      - .offset:         104
        .size:           4
        .value_kind:     by_value
      - .offset:         108
        .size:           4
        .value_kind:     by_value
      - .offset:         112
        .size:           4
        .value_kind:     by_value
      - .offset:         116
        .size:           1
        .value_kind:     by_value
    .group_segment_fixed_size: 544
    .kernarg_segment_align: 8
    .kernarg_segment_size: 120
    .language:       OpenCL C
    .language_version:
      - 2
      - 0
    .max_flat_workgroup_size: 64
    .name:           _ZN9rocsparseL35bsrgeam_wf_per_row_multipass_kernelILj64ELj4EdEEv20rocsparse_direction_iiiNS_24const_host_device_scalarIT1_EEPKiS6_PKS3_S4_S6_S6_S8_S6_PiPS3_21rocsparse_index_base_SB_SB_b
    .private_segment_fixed_size: 0
    .sgpr_count:     30
    .sgpr_spill_count: 0
    .symbol:         _ZN9rocsparseL35bsrgeam_wf_per_row_multipass_kernelILj64ELj4EdEEv20rocsparse_direction_iiiNS_24const_host_device_scalarIT1_EEPKiS6_PKS3_S4_S6_S6_S8_S6_PiPS3_21rocsparse_index_base_SB_SB_b.kd
    .uniform_work_group_size: 1
    .uses_dynamic_stack: false
    .vgpr_count:     36
    .vgpr_spill_count: 0
    .wavefront_size: 32
  - .args:
      - .offset:         0
        .size:           4
        .value_kind:     by_value
      - .offset:         4
        .size:           4
        .value_kind:     by_value
      - .offset:         8
        .size:           4
        .value_kind:     by_value
      - .offset:         12
        .size:           4
        .value_kind:     by_value
      - .offset:         16
        .size:           8
        .value_kind:     by_value
      - .actual_access:  read_only
        .address_space:  global
        .offset:         24
        .size:           8
        .value_kind:     global_buffer
      - .actual_access:  read_only
        .address_space:  global
        .offset:         32
        .size:           8
        .value_kind:     global_buffer
      - .actual_access:  read_only
        .address_space:  global
        .offset:         40
        .size:           8
        .value_kind:     global_buffer
      - .offset:         48
        .size:           8
        .value_kind:     by_value
      - .actual_access:  read_only
        .address_space:  global
        .offset:         56
        .size:           8
        .value_kind:     global_buffer
      - .actual_access:  read_only
        .address_space:  global
        .offset:         64
        .size:           8
        .value_kind:     global_buffer
      - .actual_access:  read_only
        .address_space:  global
        .offset:         72
        .size:           8
        .value_kind:     global_buffer
      - .actual_access:  read_only
        .address_space:  global
        .offset:         80
        .size:           8
        .value_kind:     global_buffer
      - .actual_access:  write_only
        .address_space:  global
        .offset:         88
        .size:           8
        .value_kind:     global_buffer
      - .actual_access:  write_only
        .address_space:  global
        .offset:         96
        .size:           8
        .value_kind:     global_buffer
      - .offset:         104
        .size:           4
        .value_kind:     by_value
      - .offset:         108
        .size:           4
        .value_kind:     by_value
      - .offset:         112
        .size:           4
        .value_kind:     by_value
      - .offset:         116
        .size:           1
        .value_kind:     by_value
    .group_segment_fixed_size: 520
    .kernarg_segment_align: 8
    .kernarg_segment_size: 120
    .language:       OpenCL C
    .language_version:
      - 2
      - 0
    .max_flat_workgroup_size: 64
    .name:           _ZN9rocsparseL35bsrgeam_wf_per_row_multipass_kernelILj64ELj8EdEEv20rocsparse_direction_iiiNS_24const_host_device_scalarIT1_EEPKiS6_PKS3_S4_S6_S6_S8_S6_PiPS3_21rocsparse_index_base_SB_SB_b
    .private_segment_fixed_size: 0
    .sgpr_count:     28
    .sgpr_spill_count: 0
    .symbol:         _ZN9rocsparseL35bsrgeam_wf_per_row_multipass_kernelILj64ELj8EdEEv20rocsparse_direction_iiiNS_24const_host_device_scalarIT1_EEPKiS6_PKS3_S4_S6_S6_S8_S6_PiPS3_21rocsparse_index_base_SB_SB_b.kd
    .uniform_work_group_size: 1
    .uses_dynamic_stack: false
    .vgpr_count:     34
    .vgpr_spill_count: 0
    .wavefront_size: 32
  - .args:
      - .offset:         0
        .size:           4
        .value_kind:     by_value
      - .offset:         4
        .size:           4
        .value_kind:     by_value
      - .offset:         8
        .size:           4
        .value_kind:     by_value
      - .offset:         12
        .size:           4
        .value_kind:     by_value
      - .offset:         16
        .size:           8
        .value_kind:     by_value
      - .actual_access:  read_only
        .address_space:  global
        .offset:         24
        .size:           8
        .value_kind:     global_buffer
      - .actual_access:  read_only
        .address_space:  global
        .offset:         32
        .size:           8
        .value_kind:     global_buffer
      - .actual_access:  read_only
        .address_space:  global
        .offset:         40
        .size:           8
        .value_kind:     global_buffer
      - .offset:         48
        .size:           8
        .value_kind:     by_value
      - .actual_access:  read_only
        .address_space:  global
        .offset:         56
        .size:           8
        .value_kind:     global_buffer
      - .actual_access:  read_only
        .address_space:  global
        .offset:         64
        .size:           8
        .value_kind:     global_buffer
      - .actual_access:  read_only
        .address_space:  global
        .offset:         72
        .size:           8
        .value_kind:     global_buffer
      - .actual_access:  read_only
        .address_space:  global
        .offset:         80
        .size:           8
        .value_kind:     global_buffer
      - .actual_access:  write_only
        .address_space:  global
        .offset:         88
        .size:           8
        .value_kind:     global_buffer
      - .actual_access:  write_only
        .address_space:  global
        .offset:         96
        .size:           8
        .value_kind:     global_buffer
      - .offset:         104
        .size:           4
        .value_kind:     by_value
      - .offset:         108
        .size:           4
        .value_kind:     by_value
      - .offset:         112
        .size:           4
        .value_kind:     by_value
      - .offset:         116
        .size:           1
        .value_kind:     by_value
    .group_segment_fixed_size: 2056
    .kernarg_segment_align: 8
    .kernarg_segment_size: 120
    .language:       OpenCL C
    .language_version:
      - 2
      - 0
    .max_flat_workgroup_size: 256
    .name:           _ZN9rocsparseL39bsrgeam_block_per_row_multipass_kernel2ILj256ELj16EdEEv20rocsparse_direction_iiiNS_24const_host_device_scalarIT1_EEPKiS6_PKS3_S4_S6_S6_S8_S6_PiPS3_21rocsparse_index_base_SB_SB_b
    .private_segment_fixed_size: 0
    .sgpr_count:     36
    .sgpr_spill_count: 0
    .symbol:         _ZN9rocsparseL39bsrgeam_block_per_row_multipass_kernel2ILj256ELj16EdEEv20rocsparse_direction_iiiNS_24const_host_device_scalarIT1_EEPKiS6_PKS3_S4_S6_S6_S8_S6_PiPS3_21rocsparse_index_base_SB_SB_b.kd
    .uniform_work_group_size: 1
    .uses_dynamic_stack: false
    .vgpr_count:     20
    .vgpr_spill_count: 0
    .wavefront_size: 32
  - .args:
      - .offset:         0
        .size:           4
        .value_kind:     by_value
      - .offset:         4
        .size:           4
        .value_kind:     by_value
      - .offset:         8
        .size:           4
        .value_kind:     by_value
      - .offset:         12
        .size:           4
        .value_kind:     by_value
      - .offset:         16
        .size:           8
        .value_kind:     by_value
      - .actual_access:  read_only
        .address_space:  global
        .offset:         24
        .size:           8
        .value_kind:     global_buffer
      - .actual_access:  read_only
        .address_space:  global
        .offset:         32
        .size:           8
        .value_kind:     global_buffer
      - .actual_access:  read_only
        .address_space:  global
        .offset:         40
        .size:           8
        .value_kind:     global_buffer
      - .offset:         48
        .size:           8
        .value_kind:     by_value
      - .actual_access:  read_only
        .address_space:  global
        .offset:         56
        .size:           8
        .value_kind:     global_buffer
      - .actual_access:  read_only
        .address_space:  global
        .offset:         64
        .size:           8
        .value_kind:     global_buffer
      - .actual_access:  read_only
        .address_space:  global
        .offset:         72
        .size:           8
        .value_kind:     global_buffer
      - .actual_access:  read_only
        .address_space:  global
        .offset:         80
        .size:           8
        .value_kind:     global_buffer
      - .actual_access:  write_only
        .address_space:  global
        .offset:         88
        .size:           8
        .value_kind:     global_buffer
      - .actual_access:  write_only
        .address_space:  global
        .offset:         96
        .size:           8
        .value_kind:     global_buffer
      - .offset:         104
        .size:           4
        .value_kind:     by_value
      - .offset:         108
        .size:           4
        .value_kind:     by_value
      - .offset:         112
        .size:           4
        .value_kind:     by_value
      - .offset:         116
        .size:           1
        .value_kind:     by_value
    .group_segment_fixed_size: 8200
    .kernarg_segment_align: 8
    .kernarg_segment_size: 120
    .language:       OpenCL C
    .language_version:
      - 2
      - 0
    .max_flat_workgroup_size: 256
    .name:           _ZN9rocsparseL39bsrgeam_block_per_row_multipass_kernel2ILj256ELj32EdEEv20rocsparse_direction_iiiNS_24const_host_device_scalarIT1_EEPKiS6_PKS3_S4_S6_S6_S8_S6_PiPS3_21rocsparse_index_base_SB_SB_b
    .private_segment_fixed_size: 0
    .sgpr_count:     39
    .sgpr_spill_count: 0
    .symbol:         _ZN9rocsparseL39bsrgeam_block_per_row_multipass_kernel2ILj256ELj32EdEEv20rocsparse_direction_iiiNS_24const_host_device_scalarIT1_EEPKiS6_PKS3_S4_S6_S6_S8_S6_PiPS3_21rocsparse_index_base_SB_SB_b.kd
    .uniform_work_group_size: 1
    .uses_dynamic_stack: false
    .vgpr_count:     32
    .vgpr_spill_count: 0
    .wavefront_size: 32
  - .args:
      - .offset:         0
        .size:           4
        .value_kind:     by_value
      - .offset:         4
        .size:           4
        .value_kind:     by_value
      - .offset:         8
        .size:           4
        .value_kind:     by_value
      - .offset:         12
        .size:           4
        .value_kind:     by_value
      - .offset:         16
        .size:           8
        .value_kind:     by_value
      - .actual_access:  read_only
        .address_space:  global
        .offset:         24
        .size:           8
        .value_kind:     global_buffer
      - .actual_access:  read_only
        .address_space:  global
        .offset:         32
        .size:           8
        .value_kind:     global_buffer
      - .actual_access:  read_only
        .address_space:  global
        .offset:         40
        .size:           8
        .value_kind:     global_buffer
      - .offset:         48
        .size:           8
        .value_kind:     by_value
      - .actual_access:  read_only
        .address_space:  global
        .offset:         56
        .size:           8
        .value_kind:     global_buffer
      - .actual_access:  read_only
        .address_space:  global
        .offset:         64
        .size:           8
        .value_kind:     global_buffer
      - .actual_access:  read_only
        .address_space:  global
        .offset:         72
        .size:           8
        .value_kind:     global_buffer
      - .actual_access:  read_only
        .address_space:  global
        .offset:         80
        .size:           8
        .value_kind:     global_buffer
      - .actual_access:  write_only
        .address_space:  global
        .offset:         88
        .size:           8
        .value_kind:     global_buffer
      - .actual_access:  write_only
        .address_space:  global
        .offset:         96
        .size:           8
        .value_kind:     global_buffer
      - .offset:         104
        .size:           4
        .value_kind:     by_value
      - .offset:         108
        .size:           4
        .value_kind:     by_value
      - .offset:         112
        .size:           4
        .value_kind:     by_value
      - .offset:         116
        .size:           1
        .value_kind:     by_value
    .group_segment_fixed_size: 8448
    .kernarg_segment_align: 8
    .kernarg_segment_size: 120
    .language:       OpenCL C
    .language_version:
      - 2
      - 0
    .max_flat_workgroup_size: 256
    .name:           _ZN9rocsparseL39bsrgeam_wf_per_row_multipass_2_3_kernelILj256ELj2ELj32E21rocsparse_complex_numIfEEEv20rocsparse_direction_iiiNS_24const_host_device_scalarIT2_EEPKiS8_PKS5_S6_S8_S8_SA_S8_PiPS5_21rocsparse_index_base_SD_SD_b
    .private_segment_fixed_size: 0
    .sgpr_count:     38
    .sgpr_spill_count: 0
    .symbol:         _ZN9rocsparseL39bsrgeam_wf_per_row_multipass_2_3_kernelILj256ELj2ELj32E21rocsparse_complex_numIfEEEv20rocsparse_direction_iiiNS_24const_host_device_scalarIT2_EEPKiS8_PKS5_S6_S8_S8_SA_S8_PiPS5_21rocsparse_index_base_SD_SD_b.kd
    .uniform_work_group_size: 1
    .uses_dynamic_stack: false
    .vgpr_count:     46
    .vgpr_spill_count: 0
    .wavefront_size: 32
  - .args:
      - .offset:         0
        .size:           4
        .value_kind:     by_value
      - .offset:         4
        .size:           4
        .value_kind:     by_value
      - .offset:         8
        .size:           4
        .value_kind:     by_value
      - .offset:         12
        .size:           4
        .value_kind:     by_value
      - .offset:         16
        .size:           8
        .value_kind:     by_value
      - .actual_access:  read_only
        .address_space:  global
        .offset:         24
        .size:           8
        .value_kind:     global_buffer
      - .actual_access:  read_only
        .address_space:  global
        .offset:         32
        .size:           8
        .value_kind:     global_buffer
      - .actual_access:  read_only
        .address_space:  global
        .offset:         40
        .size:           8
        .value_kind:     global_buffer
      - .offset:         48
        .size:           8
        .value_kind:     by_value
      - .actual_access:  read_only
        .address_space:  global
        .offset:         56
        .size:           8
        .value_kind:     global_buffer
      - .actual_access:  read_only
        .address_space:  global
        .offset:         64
        .size:           8
        .value_kind:     global_buffer
      - .actual_access:  read_only
        .address_space:  global
        .offset:         72
        .size:           8
        .value_kind:     global_buffer
      - .actual_access:  read_only
        .address_space:  global
        .offset:         80
        .size:           8
        .value_kind:     global_buffer
      - .actual_access:  write_only
        .address_space:  global
        .offset:         88
        .size:           8
        .value_kind:     global_buffer
      - .actual_access:  write_only
        .address_space:  global
        .offset:         96
        .size:           8
        .value_kind:     global_buffer
      - .offset:         104
        .size:           4
        .value_kind:     by_value
      - .offset:         108
        .size:           4
        .value_kind:     by_value
      - .offset:         112
        .size:           4
        .value_kind:     by_value
      - .offset:         116
        .size:           1
        .value_kind:     by_value
    .group_segment_fixed_size: 8448
    .kernarg_segment_align: 8
    .kernarg_segment_size: 120
    .language:       OpenCL C
    .language_version:
      - 2
      - 0
    .max_flat_workgroup_size: 256
    .name:           _ZN9rocsparseL39bsrgeam_wf_per_row_multipass_2_3_kernelILj256ELj2ELj64E21rocsparse_complex_numIfEEEv20rocsparse_direction_iiiNS_24const_host_device_scalarIT2_EEPKiS8_PKS5_S6_S8_S8_SA_S8_PiPS5_21rocsparse_index_base_SD_SD_b
    .private_segment_fixed_size: 0
    .sgpr_count:     38
    .sgpr_spill_count: 0
    .symbol:         _ZN9rocsparseL39bsrgeam_wf_per_row_multipass_2_3_kernelILj256ELj2ELj64E21rocsparse_complex_numIfEEEv20rocsparse_direction_iiiNS_24const_host_device_scalarIT2_EEPKiS8_PKS5_S6_S8_S8_SA_S8_PiPS5_21rocsparse_index_base_SD_SD_b.kd
    .uniform_work_group_size: 1
    .uses_dynamic_stack: false
    .vgpr_count:     48
    .vgpr_spill_count: 0
    .wavefront_size: 32
  - .args:
      - .offset:         0
        .size:           4
        .value_kind:     by_value
      - .offset:         4
        .size:           4
        .value_kind:     by_value
      - .offset:         8
        .size:           4
        .value_kind:     by_value
      - .offset:         12
        .size:           4
        .value_kind:     by_value
      - .offset:         16
        .size:           8
        .value_kind:     by_value
      - .actual_access:  read_only
        .address_space:  global
        .offset:         24
        .size:           8
        .value_kind:     global_buffer
      - .actual_access:  read_only
        .address_space:  global
        .offset:         32
        .size:           8
        .value_kind:     global_buffer
      - .actual_access:  read_only
        .address_space:  global
        .offset:         40
        .size:           8
        .value_kind:     global_buffer
      - .offset:         48
        .size:           8
        .value_kind:     by_value
      - .actual_access:  read_only
        .address_space:  global
        .offset:         56
        .size:           8
        .value_kind:     global_buffer
      - .actual_access:  read_only
        .address_space:  global
        .offset:         64
        .size:           8
        .value_kind:     global_buffer
      - .actual_access:  read_only
        .address_space:  global
        .offset:         72
        .size:           8
        .value_kind:     global_buffer
      - .actual_access:  read_only
        .address_space:  global
        .offset:         80
        .size:           8
        .value_kind:     global_buffer
      - .actual_access:  write_only
        .address_space:  global
        .offset:         88
        .size:           8
        .value_kind:     global_buffer
      - .actual_access:  write_only
        .address_space:  global
        .offset:         96
        .size:           8
        .value_kind:     global_buffer
      - .offset:         104
        .size:           4
        .value_kind:     by_value
      - .offset:         108
        .size:           4
        .value_kind:     by_value
      - .offset:         112
        .size:           4
        .value_kind:     by_value
      - .offset:         116
        .size:           1
        .value_kind:     by_value
    .group_segment_fixed_size: 18688
    .kernarg_segment_align: 8
    .kernarg_segment_size: 120
    .language:       OpenCL C
    .language_version:
      - 2
      - 0
    .max_flat_workgroup_size: 256
    .name:           _ZN9rocsparseL39bsrgeam_wf_per_row_multipass_2_3_kernelILj256ELj3ELj32E21rocsparse_complex_numIfEEEv20rocsparse_direction_iiiNS_24const_host_device_scalarIT2_EEPKiS8_PKS5_S6_S8_S8_SA_S8_PiPS5_21rocsparse_index_base_SD_SD_b
    .private_segment_fixed_size: 0
    .sgpr_count:     39
    .sgpr_spill_count: 0
    .symbol:         _ZN9rocsparseL39bsrgeam_wf_per_row_multipass_2_3_kernelILj256ELj3ELj32E21rocsparse_complex_numIfEEEv20rocsparse_direction_iiiNS_24const_host_device_scalarIT2_EEPKiS8_PKS5_S6_S8_S8_SA_S8_PiPS5_21rocsparse_index_base_SD_SD_b.kd
    .uniform_work_group_size: 1
    .uses_dynamic_stack: false
    .vgpr_count:     74
    .vgpr_spill_count: 0
    .wavefront_size: 32
  - .args:
      - .offset:         0
        .size:           4
        .value_kind:     by_value
      - .offset:         4
        .size:           4
        .value_kind:     by_value
      - .offset:         8
        .size:           4
        .value_kind:     by_value
      - .offset:         12
        .size:           4
        .value_kind:     by_value
      - .offset:         16
        .size:           8
        .value_kind:     by_value
      - .actual_access:  read_only
        .address_space:  global
        .offset:         24
        .size:           8
        .value_kind:     global_buffer
      - .actual_access:  read_only
        .address_space:  global
        .offset:         32
        .size:           8
        .value_kind:     global_buffer
      - .actual_access:  read_only
        .address_space:  global
        .offset:         40
        .size:           8
        .value_kind:     global_buffer
      - .offset:         48
        .size:           8
        .value_kind:     by_value
      - .actual_access:  read_only
        .address_space:  global
        .offset:         56
        .size:           8
        .value_kind:     global_buffer
      - .actual_access:  read_only
        .address_space:  global
        .offset:         64
        .size:           8
        .value_kind:     global_buffer
      - .actual_access:  read_only
        .address_space:  global
        .offset:         72
        .size:           8
        .value_kind:     global_buffer
      - .actual_access:  read_only
        .address_space:  global
        .offset:         80
        .size:           8
        .value_kind:     global_buffer
      - .actual_access:  write_only
        .address_space:  global
        .offset:         88
        .size:           8
        .value_kind:     global_buffer
      - .actual_access:  write_only
        .address_space:  global
        .offset:         96
        .size:           8
        .value_kind:     global_buffer
      - .offset:         104
        .size:           4
        .value_kind:     by_value
      - .offset:         108
        .size:           4
        .value_kind:     by_value
      - .offset:         112
        .size:           4
        .value_kind:     by_value
      - .offset:         116
        .size:           1
        .value_kind:     by_value
    .group_segment_fixed_size: 18688
    .kernarg_segment_align: 8
    .kernarg_segment_size: 120
    .language:       OpenCL C
    .language_version:
      - 2
      - 0
    .max_flat_workgroup_size: 256
    .name:           _ZN9rocsparseL39bsrgeam_wf_per_row_multipass_2_3_kernelILj256ELj3ELj64E21rocsparse_complex_numIfEEEv20rocsparse_direction_iiiNS_24const_host_device_scalarIT2_EEPKiS8_PKS5_S6_S8_S8_SA_S8_PiPS5_21rocsparse_index_base_SD_SD_b
    .private_segment_fixed_size: 0
    .sgpr_count:     39
    .sgpr_spill_count: 0
    .symbol:         _ZN9rocsparseL39bsrgeam_wf_per_row_multipass_2_3_kernelILj256ELj3ELj64E21rocsparse_complex_numIfEEEv20rocsparse_direction_iiiNS_24const_host_device_scalarIT2_EEPKiS8_PKS5_S6_S8_S8_SA_S8_PiPS5_21rocsparse_index_base_SD_SD_b.kd
    .uniform_work_group_size: 1
    .uses_dynamic_stack: false
    .vgpr_count:     74
    .vgpr_spill_count: 0
    .wavefront_size: 32
  - .args:
      - .offset:         0
        .size:           4
        .value_kind:     by_value
      - .offset:         4
        .size:           4
        .value_kind:     by_value
      - .offset:         8
        .size:           4
        .value_kind:     by_value
      - .offset:         12
        .size:           4
        .value_kind:     by_value
      - .offset:         16
        .size:           8
        .value_kind:     by_value
      - .actual_access:  read_only
        .address_space:  global
        .offset:         24
        .size:           8
        .value_kind:     global_buffer
      - .actual_access:  read_only
        .address_space:  global
        .offset:         32
        .size:           8
        .value_kind:     global_buffer
      - .actual_access:  read_only
        .address_space:  global
        .offset:         40
        .size:           8
        .value_kind:     global_buffer
      - .offset:         48
        .size:           8
        .value_kind:     by_value
      - .actual_access:  read_only
        .address_space:  global
        .offset:         56
        .size:           8
        .value_kind:     global_buffer
      - .actual_access:  read_only
        .address_space:  global
        .offset:         64
        .size:           8
        .value_kind:     global_buffer
      - .actual_access:  read_only
        .address_space:  global
        .offset:         72
        .size:           8
        .value_kind:     global_buffer
      - .actual_access:  read_only
        .address_space:  global
        .offset:         80
        .size:           8
        .value_kind:     global_buffer
      - .actual_access:  write_only
        .address_space:  global
        .offset:         88
        .size:           8
        .value_kind:     global_buffer
      - .actual_access:  write_only
        .address_space:  global
        .offset:         96
        .size:           8
        .value_kind:     global_buffer
      - .offset:         104
        .size:           4
        .value_kind:     by_value
      - .offset:         108
        .size:           4
        .value_kind:     by_value
      - .offset:         112
        .size:           4
        .value_kind:     by_value
      - .offset:         116
        .size:           1
        .value_kind:     by_value
    .group_segment_fixed_size: 544
    .kernarg_segment_align: 8
    .kernarg_segment_size: 120
    .language:       OpenCL C
    .language_version:
      - 2
      - 0
    .max_flat_workgroup_size: 64
    .name:           _ZN9rocsparseL35bsrgeam_wf_per_row_multipass_kernelILj64ELj4E21rocsparse_complex_numIfEEEv20rocsparse_direction_iiiNS_24const_host_device_scalarIT1_EEPKiS8_PKS5_S6_S8_S8_SA_S8_PiPS5_21rocsparse_index_base_SD_SD_b
    .private_segment_fixed_size: 0
    .sgpr_count:     38
    .sgpr_spill_count: 0
    .symbol:         _ZN9rocsparseL35bsrgeam_wf_per_row_multipass_kernelILj64ELj4E21rocsparse_complex_numIfEEEv20rocsparse_direction_iiiNS_24const_host_device_scalarIT1_EEPKiS8_PKS5_S6_S8_S8_SA_S8_PiPS5_21rocsparse_index_base_SD_SD_b.kd
    .uniform_work_group_size: 1
    .uses_dynamic_stack: false
    .vgpr_count:     30
    .vgpr_spill_count: 0
    .wavefront_size: 32
  - .args:
      - .offset:         0
        .size:           4
        .value_kind:     by_value
      - .offset:         4
        .size:           4
        .value_kind:     by_value
      - .offset:         8
        .size:           4
        .value_kind:     by_value
      - .offset:         12
        .size:           4
        .value_kind:     by_value
      - .offset:         16
        .size:           8
        .value_kind:     by_value
      - .actual_access:  read_only
        .address_space:  global
        .offset:         24
        .size:           8
        .value_kind:     global_buffer
      - .actual_access:  read_only
        .address_space:  global
        .offset:         32
        .size:           8
        .value_kind:     global_buffer
      - .actual_access:  read_only
        .address_space:  global
        .offset:         40
        .size:           8
        .value_kind:     global_buffer
      - .offset:         48
        .size:           8
        .value_kind:     by_value
      - .actual_access:  read_only
        .address_space:  global
        .offset:         56
        .size:           8
        .value_kind:     global_buffer
      - .actual_access:  read_only
        .address_space:  global
        .offset:         64
        .size:           8
        .value_kind:     global_buffer
      - .actual_access:  read_only
        .address_space:  global
        .offset:         72
        .size:           8
        .value_kind:     global_buffer
      - .actual_access:  read_only
        .address_space:  global
        .offset:         80
        .size:           8
        .value_kind:     global_buffer
      - .actual_access:  write_only
        .address_space:  global
        .offset:         88
        .size:           8
        .value_kind:     global_buffer
      - .actual_access:  write_only
        .address_space:  global
        .offset:         96
        .size:           8
        .value_kind:     global_buffer
      - .offset:         104
        .size:           4
        .value_kind:     by_value
      - .offset:         108
        .size:           4
        .value_kind:     by_value
      - .offset:         112
        .size:           4
        .value_kind:     by_value
      - .offset:         116
        .size:           1
        .value_kind:     by_value
    .group_segment_fixed_size: 520
    .kernarg_segment_align: 8
    .kernarg_segment_size: 120
    .language:       OpenCL C
    .language_version:
      - 2
      - 0
    .max_flat_workgroup_size: 64
    .name:           _ZN9rocsparseL35bsrgeam_wf_per_row_multipass_kernelILj64ELj8E21rocsparse_complex_numIfEEEv20rocsparse_direction_iiiNS_24const_host_device_scalarIT1_EEPKiS8_PKS5_S6_S8_S8_SA_S8_PiPS5_21rocsparse_index_base_SD_SD_b
    .private_segment_fixed_size: 0
    .sgpr_count:     36
    .sgpr_spill_count: 0
    .symbol:         _ZN9rocsparseL35bsrgeam_wf_per_row_multipass_kernelILj64ELj8E21rocsparse_complex_numIfEEEv20rocsparse_direction_iiiNS_24const_host_device_scalarIT1_EEPKiS8_PKS5_S6_S8_S8_SA_S8_PiPS5_21rocsparse_index_base_SD_SD_b.kd
    .uniform_work_group_size: 1
    .uses_dynamic_stack: false
    .vgpr_count:     30
    .vgpr_spill_count: 0
    .wavefront_size: 32
  - .args:
      - .offset:         0
        .size:           4
        .value_kind:     by_value
      - .offset:         4
        .size:           4
        .value_kind:     by_value
      - .offset:         8
        .size:           4
        .value_kind:     by_value
      - .offset:         12
        .size:           4
        .value_kind:     by_value
      - .offset:         16
        .size:           8
        .value_kind:     by_value
      - .actual_access:  read_only
        .address_space:  global
        .offset:         24
        .size:           8
        .value_kind:     global_buffer
      - .actual_access:  read_only
        .address_space:  global
        .offset:         32
        .size:           8
        .value_kind:     global_buffer
      - .actual_access:  read_only
        .address_space:  global
        .offset:         40
        .size:           8
        .value_kind:     global_buffer
      - .offset:         48
        .size:           8
        .value_kind:     by_value
      - .actual_access:  read_only
        .address_space:  global
        .offset:         56
        .size:           8
        .value_kind:     global_buffer
      - .actual_access:  read_only
        .address_space:  global
        .offset:         64
        .size:           8
        .value_kind:     global_buffer
      - .actual_access:  read_only
        .address_space:  global
        .offset:         72
        .size:           8
        .value_kind:     global_buffer
      - .actual_access:  read_only
        .address_space:  global
        .offset:         80
        .size:           8
        .value_kind:     global_buffer
      - .actual_access:  write_only
        .address_space:  global
        .offset:         88
        .size:           8
        .value_kind:     global_buffer
      - .actual_access:  write_only
        .address_space:  global
        .offset:         96
        .size:           8
        .value_kind:     global_buffer
      - .offset:         104
        .size:           4
        .value_kind:     by_value
      - .offset:         108
        .size:           4
        .value_kind:     by_value
      - .offset:         112
        .size:           4
        .value_kind:     by_value
      - .offset:         116
        .size:           1
        .value_kind:     by_value
    .group_segment_fixed_size: 2052
    .kernarg_segment_align: 8
    .kernarg_segment_size: 120
    .language:       OpenCL C
    .language_version:
      - 2
      - 0
    .max_flat_workgroup_size: 256
    .name:           _ZN9rocsparseL39bsrgeam_block_per_row_multipass_kernel2ILj256ELj16E21rocsparse_complex_numIfEEEv20rocsparse_direction_iiiNS_24const_host_device_scalarIT1_EEPKiS8_PKS5_S6_S8_S8_SA_S8_PiPS5_21rocsparse_index_base_SD_SD_b
    .private_segment_fixed_size: 0
    .sgpr_count:     44
    .sgpr_spill_count: 0
    .symbol:         _ZN9rocsparseL39bsrgeam_block_per_row_multipass_kernel2ILj256ELj16E21rocsparse_complex_numIfEEEv20rocsparse_direction_iiiNS_24const_host_device_scalarIT1_EEPKiS8_PKS5_S6_S8_S8_SA_S8_PiPS5_21rocsparse_index_base_SD_SD_b.kd
    .uniform_work_group_size: 1
    .uses_dynamic_stack: false
    .vgpr_count:     18
    .vgpr_spill_count: 0
    .wavefront_size: 32
  - .args:
      - .offset:         0
        .size:           4
        .value_kind:     by_value
      - .offset:         4
        .size:           4
        .value_kind:     by_value
      - .offset:         8
        .size:           4
        .value_kind:     by_value
      - .offset:         12
        .size:           4
        .value_kind:     by_value
      - .offset:         16
        .size:           8
        .value_kind:     by_value
      - .actual_access:  read_only
        .address_space:  global
        .offset:         24
        .size:           8
        .value_kind:     global_buffer
      - .actual_access:  read_only
        .address_space:  global
        .offset:         32
        .size:           8
        .value_kind:     global_buffer
      - .actual_access:  read_only
        .address_space:  global
        .offset:         40
        .size:           8
        .value_kind:     global_buffer
      - .offset:         48
        .size:           8
        .value_kind:     by_value
      - .actual_access:  read_only
        .address_space:  global
        .offset:         56
        .size:           8
        .value_kind:     global_buffer
      - .actual_access:  read_only
        .address_space:  global
        .offset:         64
        .size:           8
        .value_kind:     global_buffer
      - .actual_access:  read_only
        .address_space:  global
        .offset:         72
        .size:           8
        .value_kind:     global_buffer
      - .actual_access:  read_only
        .address_space:  global
        .offset:         80
        .size:           8
        .value_kind:     global_buffer
      - .actual_access:  write_only
        .address_space:  global
        .offset:         88
        .size:           8
        .value_kind:     global_buffer
      - .actual_access:  write_only
        .address_space:  global
        .offset:         96
        .size:           8
        .value_kind:     global_buffer
      - .offset:         104
        .size:           4
        .value_kind:     by_value
      - .offset:         108
        .size:           4
        .value_kind:     by_value
      - .offset:         112
        .size:           4
        .value_kind:     by_value
      - .offset:         116
        .size:           1
        .value_kind:     by_value
    .group_segment_fixed_size: 8196
    .kernarg_segment_align: 8
    .kernarg_segment_size: 120
    .language:       OpenCL C
    .language_version:
      - 2
      - 0
    .max_flat_workgroup_size: 256
    .name:           _ZN9rocsparseL39bsrgeam_block_per_row_multipass_kernel2ILj256ELj32E21rocsparse_complex_numIfEEEv20rocsparse_direction_iiiNS_24const_host_device_scalarIT1_EEPKiS8_PKS5_S6_S8_S8_SA_S8_PiPS5_21rocsparse_index_base_SD_SD_b
    .private_segment_fixed_size: 0
    .sgpr_count:     47
    .sgpr_spill_count: 0
    .symbol:         _ZN9rocsparseL39bsrgeam_block_per_row_multipass_kernel2ILj256ELj32E21rocsparse_complex_numIfEEEv20rocsparse_direction_iiiNS_24const_host_device_scalarIT1_EEPKiS8_PKS5_S6_S8_S8_SA_S8_PiPS5_21rocsparse_index_base_SD_SD_b.kd
    .uniform_work_group_size: 1
    .uses_dynamic_stack: false
    .vgpr_count:     26
    .vgpr_spill_count: 0
    .wavefront_size: 32
  - .args:
      - .offset:         0
        .size:           4
        .value_kind:     by_value
      - .offset:         4
        .size:           4
        .value_kind:     by_value
      - .offset:         8
        .size:           4
        .value_kind:     by_value
      - .offset:         12
        .size:           4
        .value_kind:     by_value
      - .offset:         16
        .size:           16
        .value_kind:     by_value
      - .actual_access:  read_only
        .address_space:  global
        .offset:         32
        .size:           8
        .value_kind:     global_buffer
      - .actual_access:  read_only
        .address_space:  global
        .offset:         40
        .size:           8
        .value_kind:     global_buffer
      - .actual_access:  read_only
        .address_space:  global
        .offset:         48
        .size:           8
        .value_kind:     global_buffer
      - .offset:         56
        .size:           16
        .value_kind:     by_value
      - .actual_access:  read_only
        .address_space:  global
        .offset:         72
        .size:           8
        .value_kind:     global_buffer
      - .actual_access:  read_only
        .address_space:  global
        .offset:         80
        .size:           8
        .value_kind:     global_buffer
      - .actual_access:  read_only
        .address_space:  global
        .offset:         88
        .size:           8
        .value_kind:     global_buffer
      - .actual_access:  read_only
        .address_space:  global
        .offset:         96
        .size:           8
        .value_kind:     global_buffer
      - .actual_access:  write_only
        .address_space:  global
        .offset:         104
        .size:           8
        .value_kind:     global_buffer
      - .actual_access:  write_only
        .address_space:  global
        .offset:         112
        .size:           8
        .value_kind:     global_buffer
      - .offset:         120
        .size:           4
        .value_kind:     by_value
      - .offset:         124
        .size:           4
        .value_kind:     by_value
      - .offset:         128
        .size:           4
        .value_kind:     by_value
      - .offset:         132
        .size:           1
        .value_kind:     by_value
    .group_segment_fixed_size: 16640
    .kernarg_segment_align: 8
    .kernarg_segment_size: 136
    .language:       OpenCL C
    .language_version:
      - 2
      - 0
    .max_flat_workgroup_size: 256
    .name:           _ZN9rocsparseL39bsrgeam_wf_per_row_multipass_2_3_kernelILj256ELj2ELj32E21rocsparse_complex_numIdEEEv20rocsparse_direction_iiiNS_24const_host_device_scalarIT2_EEPKiS8_PKS5_S6_S8_S8_SA_S8_PiPS5_21rocsparse_index_base_SD_SD_b
    .private_segment_fixed_size: 16
    .sgpr_count:     29
    .sgpr_spill_count: 0
    .symbol:         _ZN9rocsparseL39bsrgeam_wf_per_row_multipass_2_3_kernelILj256ELj2ELj32E21rocsparse_complex_numIdEEEv20rocsparse_direction_iiiNS_24const_host_device_scalarIT2_EEPKiS8_PKS5_S6_S8_S8_SA_S8_PiPS5_21rocsparse_index_base_SD_SD_b.kd
    .uniform_work_group_size: 1
    .uses_dynamic_stack: false
    .vgpr_count:     68
    .vgpr_spill_count: 0
    .wavefront_size: 32
  - .args:
      - .offset:         0
        .size:           4
        .value_kind:     by_value
      - .offset:         4
        .size:           4
        .value_kind:     by_value
      - .offset:         8
        .size:           4
        .value_kind:     by_value
      - .offset:         12
        .size:           4
        .value_kind:     by_value
      - .offset:         16
        .size:           16
        .value_kind:     by_value
      - .actual_access:  read_only
        .address_space:  global
        .offset:         32
        .size:           8
        .value_kind:     global_buffer
      - .actual_access:  read_only
        .address_space:  global
        .offset:         40
        .size:           8
        .value_kind:     global_buffer
      - .actual_access:  read_only
        .address_space:  global
        .offset:         48
        .size:           8
        .value_kind:     global_buffer
      - .offset:         56
        .size:           16
        .value_kind:     by_value
      - .actual_access:  read_only
        .address_space:  global
        .offset:         72
        .size:           8
        .value_kind:     global_buffer
      - .actual_access:  read_only
        .address_space:  global
        .offset:         80
        .size:           8
        .value_kind:     global_buffer
      - .actual_access:  read_only
        .address_space:  global
        .offset:         88
        .size:           8
        .value_kind:     global_buffer
      - .actual_access:  read_only
        .address_space:  global
        .offset:         96
        .size:           8
        .value_kind:     global_buffer
      - .actual_access:  write_only
        .address_space:  global
        .offset:         104
        .size:           8
        .value_kind:     global_buffer
      - .actual_access:  write_only
        .address_space:  global
        .offset:         112
        .size:           8
        .value_kind:     global_buffer
      - .offset:         120
        .size:           4
        .value_kind:     by_value
      - .offset:         124
        .size:           4
        .value_kind:     by_value
      - .offset:         128
        .size:           4
        .value_kind:     by_value
      - .offset:         132
        .size:           1
        .value_kind:     by_value
    .group_segment_fixed_size: 16640
    .kernarg_segment_align: 8
    .kernarg_segment_size: 136
    .language:       OpenCL C
    .language_version:
      - 2
      - 0
    .max_flat_workgroup_size: 256
    .name:           _ZN9rocsparseL39bsrgeam_wf_per_row_multipass_2_3_kernelILj256ELj2ELj64E21rocsparse_complex_numIdEEEv20rocsparse_direction_iiiNS_24const_host_device_scalarIT2_EEPKiS8_PKS5_S6_S8_S8_SA_S8_PiPS5_21rocsparse_index_base_SD_SD_b
    .private_segment_fixed_size: 16
    .sgpr_count:     29
    .sgpr_spill_count: 0
    .symbol:         _ZN9rocsparseL39bsrgeam_wf_per_row_multipass_2_3_kernelILj256ELj2ELj64E21rocsparse_complex_numIdEEEv20rocsparse_direction_iiiNS_24const_host_device_scalarIT2_EEPKiS8_PKS5_S6_S8_S8_SA_S8_PiPS5_21rocsparse_index_base_SD_SD_b.kd
    .uniform_work_group_size: 1
    .uses_dynamic_stack: false
    .vgpr_count:     68
    .vgpr_spill_count: 0
    .wavefront_size: 32
  - .args:
      - .offset:         0
        .size:           4
        .value_kind:     by_value
      - .offset:         4
        .size:           4
        .value_kind:     by_value
      - .offset:         8
        .size:           4
        .value_kind:     by_value
      - .offset:         12
        .size:           4
        .value_kind:     by_value
      - .offset:         16
        .size:           16
        .value_kind:     by_value
      - .actual_access:  read_only
        .address_space:  global
        .offset:         32
        .size:           8
        .value_kind:     global_buffer
      - .actual_access:  read_only
        .address_space:  global
        .offset:         40
        .size:           8
        .value_kind:     global_buffer
      - .actual_access:  read_only
        .address_space:  global
        .offset:         48
        .size:           8
        .value_kind:     global_buffer
      - .offset:         56
        .size:           16
        .value_kind:     by_value
      - .actual_access:  read_only
        .address_space:  global
        .offset:         72
        .size:           8
        .value_kind:     global_buffer
      - .actual_access:  read_only
        .address_space:  global
        .offset:         80
        .size:           8
        .value_kind:     global_buffer
      - .actual_access:  read_only
        .address_space:  global
        .offset:         88
        .size:           8
        .value_kind:     global_buffer
      - .actual_access:  read_only
        .address_space:  global
        .offset:         96
        .size:           8
        .value_kind:     global_buffer
      - .actual_access:  write_only
        .address_space:  global
        .offset:         104
        .size:           8
        .value_kind:     global_buffer
      - .actual_access:  write_only
        .address_space:  global
        .offset:         112
        .size:           8
        .value_kind:     global_buffer
      - .offset:         120
        .size:           4
        .value_kind:     by_value
      - .offset:         124
        .size:           4
        .value_kind:     by_value
      - .offset:         128
        .size:           4
        .value_kind:     by_value
      - .offset:         132
        .size:           1
        .value_kind:     by_value
    .group_segment_fixed_size: 37120
    .kernarg_segment_align: 8
    .kernarg_segment_size: 136
    .language:       OpenCL C
    .language_version:
      - 2
      - 0
    .max_flat_workgroup_size: 256
    .name:           _ZN9rocsparseL39bsrgeam_wf_per_row_multipass_2_3_kernelILj256ELj3ELj32E21rocsparse_complex_numIdEEEv20rocsparse_direction_iiiNS_24const_host_device_scalarIT2_EEPKiS8_PKS5_S6_S8_S8_SA_S8_PiPS5_21rocsparse_index_base_SD_SD_b
    .private_segment_fixed_size: 16
    .sgpr_count:     29
    .sgpr_spill_count: 0
    .symbol:         _ZN9rocsparseL39bsrgeam_wf_per_row_multipass_2_3_kernelILj256ELj3ELj32E21rocsparse_complex_numIdEEEv20rocsparse_direction_iiiNS_24const_host_device_scalarIT2_EEPKiS8_PKS5_S6_S8_S8_SA_S8_PiPS5_21rocsparse_index_base_SD_SD_b.kd
    .uniform_work_group_size: 1
    .uses_dynamic_stack: false
    .vgpr_count:     118
    .vgpr_spill_count: 0
    .wavefront_size: 32
  - .args:
      - .offset:         0
        .size:           4
        .value_kind:     by_value
      - .offset:         4
        .size:           4
        .value_kind:     by_value
      - .offset:         8
        .size:           4
        .value_kind:     by_value
      - .offset:         12
        .size:           4
        .value_kind:     by_value
      - .offset:         16
        .size:           16
        .value_kind:     by_value
      - .actual_access:  read_only
        .address_space:  global
        .offset:         32
        .size:           8
        .value_kind:     global_buffer
      - .actual_access:  read_only
        .address_space:  global
        .offset:         40
        .size:           8
        .value_kind:     global_buffer
      - .actual_access:  read_only
        .address_space:  global
        .offset:         48
        .size:           8
        .value_kind:     global_buffer
      - .offset:         56
        .size:           16
        .value_kind:     by_value
      - .actual_access:  read_only
        .address_space:  global
        .offset:         72
        .size:           8
        .value_kind:     global_buffer
      - .actual_access:  read_only
        .address_space:  global
        .offset:         80
        .size:           8
        .value_kind:     global_buffer
      - .actual_access:  read_only
        .address_space:  global
        .offset:         88
        .size:           8
        .value_kind:     global_buffer
      - .actual_access:  read_only
        .address_space:  global
        .offset:         96
        .size:           8
        .value_kind:     global_buffer
      - .actual_access:  write_only
        .address_space:  global
        .offset:         104
        .size:           8
        .value_kind:     global_buffer
      - .actual_access:  write_only
        .address_space:  global
        .offset:         112
        .size:           8
        .value_kind:     global_buffer
      - .offset:         120
        .size:           4
        .value_kind:     by_value
      - .offset:         124
        .size:           4
        .value_kind:     by_value
      - .offset:         128
        .size:           4
        .value_kind:     by_value
      - .offset:         132
        .size:           1
        .value_kind:     by_value
    .group_segment_fixed_size: 37120
    .kernarg_segment_align: 8
    .kernarg_segment_size: 136
    .language:       OpenCL C
    .language_version:
      - 2
      - 0
    .max_flat_workgroup_size: 256
    .name:           _ZN9rocsparseL39bsrgeam_wf_per_row_multipass_2_3_kernelILj256ELj3ELj64E21rocsparse_complex_numIdEEEv20rocsparse_direction_iiiNS_24const_host_device_scalarIT2_EEPKiS8_PKS5_S6_S8_S8_SA_S8_PiPS5_21rocsparse_index_base_SD_SD_b
    .private_segment_fixed_size: 16
    .sgpr_count:     29
    .sgpr_spill_count: 0
    .symbol:         _ZN9rocsparseL39bsrgeam_wf_per_row_multipass_2_3_kernelILj256ELj3ELj64E21rocsparse_complex_numIdEEEv20rocsparse_direction_iiiNS_24const_host_device_scalarIT2_EEPKiS8_PKS5_S6_S8_S8_SA_S8_PiPS5_21rocsparse_index_base_SD_SD_b.kd
    .uniform_work_group_size: 1
    .uses_dynamic_stack: false
    .vgpr_count:     118
    .vgpr_spill_count: 0
    .wavefront_size: 32
  - .args:
      - .offset:         0
        .size:           4
        .value_kind:     by_value
      - .offset:         4
        .size:           4
        .value_kind:     by_value
      - .offset:         8
        .size:           4
        .value_kind:     by_value
      - .offset:         12
        .size:           4
        .value_kind:     by_value
      - .offset:         16
        .size:           16
        .value_kind:     by_value
      - .actual_access:  read_only
        .address_space:  global
        .offset:         32
        .size:           8
        .value_kind:     global_buffer
      - .actual_access:  read_only
        .address_space:  global
        .offset:         40
        .size:           8
        .value_kind:     global_buffer
      - .actual_access:  read_only
        .address_space:  global
        .offset:         48
        .size:           8
        .value_kind:     global_buffer
      - .offset:         56
        .size:           16
        .value_kind:     by_value
      - .actual_access:  read_only
        .address_space:  global
        .offset:         72
        .size:           8
        .value_kind:     global_buffer
      - .actual_access:  read_only
        .address_space:  global
        .offset:         80
        .size:           8
        .value_kind:     global_buffer
      - .actual_access:  read_only
        .address_space:  global
        .offset:         88
        .size:           8
        .value_kind:     global_buffer
      - .actual_access:  read_only
        .address_space:  global
        .offset:         96
        .size:           8
        .value_kind:     global_buffer
      - .actual_access:  write_only
        .address_space:  global
        .offset:         104
        .size:           8
        .value_kind:     global_buffer
      - .actual_access:  write_only
        .address_space:  global
        .offset:         112
        .size:           8
        .value_kind:     global_buffer
      - .offset:         120
        .size:           4
        .value_kind:     by_value
      - .offset:         124
        .size:           4
        .value_kind:     by_value
      - .offset:         128
        .size:           4
        .value_kind:     by_value
      - .offset:         132
        .size:           1
        .value_kind:     by_value
    .group_segment_fixed_size: 1056
    .kernarg_segment_align: 8
    .kernarg_segment_size: 136
    .language:       OpenCL C
    .language_version:
      - 2
      - 0
    .max_flat_workgroup_size: 64
    .name:           _ZN9rocsparseL35bsrgeam_wf_per_row_multipass_kernelILj64ELj4E21rocsparse_complex_numIdEEEv20rocsparse_direction_iiiNS_24const_host_device_scalarIT1_EEPKiS8_PKS5_S6_S8_S8_SA_S8_PiPS5_21rocsparse_index_base_SD_SD_b
    .private_segment_fixed_size: 16
    .sgpr_count:     30
    .sgpr_spill_count: 0
    .symbol:         _ZN9rocsparseL35bsrgeam_wf_per_row_multipass_kernelILj64ELj4E21rocsparse_complex_numIdEEEv20rocsparse_direction_iiiNS_24const_host_device_scalarIT1_EEPKiS8_PKS5_S6_S8_S8_SA_S8_PiPS5_21rocsparse_index_base_SD_SD_b.kd
    .uniform_work_group_size: 1
    .uses_dynamic_stack: false
    .vgpr_count:     44
    .vgpr_spill_count: 0
    .wavefront_size: 32
  - .args:
      - .offset:         0
        .size:           4
        .value_kind:     by_value
      - .offset:         4
        .size:           4
        .value_kind:     by_value
      - .offset:         8
        .size:           4
        .value_kind:     by_value
      - .offset:         12
        .size:           4
        .value_kind:     by_value
      - .offset:         16
        .size:           16
        .value_kind:     by_value
      - .actual_access:  read_only
        .address_space:  global
        .offset:         32
        .size:           8
        .value_kind:     global_buffer
      - .actual_access:  read_only
        .address_space:  global
        .offset:         40
        .size:           8
        .value_kind:     global_buffer
      - .actual_access:  read_only
        .address_space:  global
        .offset:         48
        .size:           8
        .value_kind:     global_buffer
      - .offset:         56
        .size:           16
        .value_kind:     by_value
      - .actual_access:  read_only
        .address_space:  global
        .offset:         72
        .size:           8
        .value_kind:     global_buffer
      - .actual_access:  read_only
        .address_space:  global
        .offset:         80
        .size:           8
        .value_kind:     global_buffer
      - .actual_access:  read_only
        .address_space:  global
        .offset:         88
        .size:           8
        .value_kind:     global_buffer
      - .actual_access:  read_only
        .address_space:  global
        .offset:         96
        .size:           8
        .value_kind:     global_buffer
      - .actual_access:  write_only
        .address_space:  global
        .offset:         104
        .size:           8
        .value_kind:     global_buffer
      - .actual_access:  write_only
        .address_space:  global
        .offset:         112
        .size:           8
        .value_kind:     global_buffer
      - .offset:         120
        .size:           4
        .value_kind:     by_value
      - .offset:         124
        .size:           4
        .value_kind:     by_value
      - .offset:         128
        .size:           4
        .value_kind:     by_value
      - .offset:         132
        .size:           1
        .value_kind:     by_value
    .group_segment_fixed_size: 1032
    .kernarg_segment_align: 8
    .kernarg_segment_size: 136
    .language:       OpenCL C
    .language_version:
      - 2
      - 0
    .max_flat_workgroup_size: 64
    .name:           _ZN9rocsparseL35bsrgeam_wf_per_row_multipass_kernelILj64ELj8E21rocsparse_complex_numIdEEEv20rocsparse_direction_iiiNS_24const_host_device_scalarIT1_EEPKiS8_PKS5_S6_S8_S8_SA_S8_PiPS5_21rocsparse_index_base_SD_SD_b
    .private_segment_fixed_size: 16
    .sgpr_count:     28
    .sgpr_spill_count: 0
    .symbol:         _ZN9rocsparseL35bsrgeam_wf_per_row_multipass_kernelILj64ELj8E21rocsparse_complex_numIdEEEv20rocsparse_direction_iiiNS_24const_host_device_scalarIT1_EEPKiS8_PKS5_S6_S8_S8_SA_S8_PiPS5_21rocsparse_index_base_SD_SD_b.kd
    .uniform_work_group_size: 1
    .uses_dynamic_stack: false
    .vgpr_count:     44
    .vgpr_spill_count: 0
    .wavefront_size: 32
  - .args:
      - .offset:         0
        .size:           4
        .value_kind:     by_value
      - .offset:         4
        .size:           4
        .value_kind:     by_value
      - .offset:         8
        .size:           4
        .value_kind:     by_value
      - .offset:         12
        .size:           4
        .value_kind:     by_value
      - .offset:         16
        .size:           16
        .value_kind:     by_value
      - .actual_access:  read_only
        .address_space:  global
        .offset:         32
        .size:           8
        .value_kind:     global_buffer
      - .actual_access:  read_only
        .address_space:  global
        .offset:         40
        .size:           8
        .value_kind:     global_buffer
      - .actual_access:  read_only
        .address_space:  global
        .offset:         48
        .size:           8
        .value_kind:     global_buffer
      - .offset:         56
        .size:           16
        .value_kind:     by_value
      - .actual_access:  read_only
        .address_space:  global
        .offset:         72
        .size:           8
        .value_kind:     global_buffer
      - .actual_access:  read_only
        .address_space:  global
        .offset:         80
        .size:           8
        .value_kind:     global_buffer
      - .actual_access:  read_only
        .address_space:  global
        .offset:         88
        .size:           8
        .value_kind:     global_buffer
      - .actual_access:  read_only
        .address_space:  global
        .offset:         96
        .size:           8
        .value_kind:     global_buffer
      - .actual_access:  write_only
        .address_space:  global
        .offset:         104
        .size:           8
        .value_kind:     global_buffer
      - .actual_access:  write_only
        .address_space:  global
        .offset:         112
        .size:           8
        .value_kind:     global_buffer
      - .offset:         120
        .size:           4
        .value_kind:     by_value
      - .offset:         124
        .size:           4
        .value_kind:     by_value
      - .offset:         128
        .size:           4
        .value_kind:     by_value
      - .offset:         132
        .size:           1
        .value_kind:     by_value
    .group_segment_fixed_size: 4104
    .kernarg_segment_align: 8
    .kernarg_segment_size: 136
    .language:       OpenCL C
    .language_version:
      - 2
      - 0
    .max_flat_workgroup_size: 256
    .name:           _ZN9rocsparseL39bsrgeam_block_per_row_multipass_kernel2ILj256ELj16E21rocsparse_complex_numIdEEEv20rocsparse_direction_iiiNS_24const_host_device_scalarIT1_EEPKiS8_PKS5_S6_S8_S8_SA_S8_PiPS5_21rocsparse_index_base_SD_SD_b
    .private_segment_fixed_size: 16
    .sgpr_count:     36
    .sgpr_spill_count: 0
    .symbol:         _ZN9rocsparseL39bsrgeam_block_per_row_multipass_kernel2ILj256ELj16E21rocsparse_complex_numIdEEEv20rocsparse_direction_iiiNS_24const_host_device_scalarIT1_EEPKiS8_PKS5_S6_S8_S8_SA_S8_PiPS5_21rocsparse_index_base_SD_SD_b.kd
    .uniform_work_group_size: 1
    .uses_dynamic_stack: false
    .vgpr_count:     28
    .vgpr_spill_count: 0
    .wavefront_size: 32
  - .args:
      - .offset:         0
        .size:           4
        .value_kind:     by_value
      - .offset:         4
        .size:           4
        .value_kind:     by_value
      - .offset:         8
        .size:           4
        .value_kind:     by_value
      - .offset:         12
        .size:           4
        .value_kind:     by_value
      - .offset:         16
        .size:           16
        .value_kind:     by_value
      - .actual_access:  read_only
        .address_space:  global
        .offset:         32
        .size:           8
        .value_kind:     global_buffer
      - .actual_access:  read_only
        .address_space:  global
        .offset:         40
        .size:           8
        .value_kind:     global_buffer
      - .actual_access:  read_only
        .address_space:  global
        .offset:         48
        .size:           8
        .value_kind:     global_buffer
      - .offset:         56
        .size:           16
        .value_kind:     by_value
      - .actual_access:  read_only
        .address_space:  global
        .offset:         72
        .size:           8
        .value_kind:     global_buffer
      - .actual_access:  read_only
        .address_space:  global
        .offset:         80
        .size:           8
        .value_kind:     global_buffer
      - .actual_access:  read_only
        .address_space:  global
        .offset:         88
        .size:           8
        .value_kind:     global_buffer
      - .actual_access:  read_only
        .address_space:  global
        .offset:         96
        .size:           8
        .value_kind:     global_buffer
      - .actual_access:  write_only
        .address_space:  global
        .offset:         104
        .size:           8
        .value_kind:     global_buffer
      - .actual_access:  write_only
        .address_space:  global
        .offset:         112
        .size:           8
        .value_kind:     global_buffer
      - .offset:         120
        .size:           4
        .value_kind:     by_value
      - .offset:         124
        .size:           4
        .value_kind:     by_value
      - .offset:         128
        .size:           4
        .value_kind:     by_value
      - .offset:         132
        .size:           1
        .value_kind:     by_value
    .group_segment_fixed_size: 16392
    .kernarg_segment_align: 8
    .kernarg_segment_size: 136
    .language:       OpenCL C
    .language_version:
      - 2
      - 0
    .max_flat_workgroup_size: 256
    .name:           _ZN9rocsparseL39bsrgeam_block_per_row_multipass_kernel2ILj256ELj32E21rocsparse_complex_numIdEEEv20rocsparse_direction_iiiNS_24const_host_device_scalarIT1_EEPKiS8_PKS5_S6_S8_S8_SA_S8_PiPS5_21rocsparse_index_base_SD_SD_b
    .private_segment_fixed_size: 16
    .sgpr_count:     42
    .sgpr_spill_count: 0
    .symbol:         _ZN9rocsparseL39bsrgeam_block_per_row_multipass_kernel2ILj256ELj32E21rocsparse_complex_numIdEEEv20rocsparse_direction_iiiNS_24const_host_device_scalarIT1_EEPKiS8_PKS5_S6_S8_S8_SA_S8_PiPS5_21rocsparse_index_base_SD_SD_b.kd
    .uniform_work_group_size: 1
    .uses_dynamic_stack: false
    .vgpr_count:     42
    .vgpr_spill_count: 0
    .wavefront_size: 32
amdhsa.target:   amdgcn-amd-amdhsa--gfx1250
amdhsa.version:
  - 1
  - 2
...

	.end_amdgpu_metadata
